;; amdgpu-corpus repo=ROCm/rocBLAS kind=compiled arch=gfx1250 opt=O3
	.amdgcn_target "amdgcn-amd-amdhsa--gfx1250"
	.amdhsa_code_object_version 6
	.section	.text._ZL20rocblas_tpmvn_kernelILi512EPKfPfS2_EvbbiT0_llT1_lllT2_li,"axG",@progbits,_ZL20rocblas_tpmvn_kernelILi512EPKfPfS2_EvbbiT0_llT1_lllT2_li,comdat
	.globl	_ZL20rocblas_tpmvn_kernelILi512EPKfPfS2_EvbbiT0_llT1_lllT2_li ; -- Begin function _ZL20rocblas_tpmvn_kernelILi512EPKfPfS2_EvbbiT0_llT1_lllT2_li
	.p2align	8
	.type	_ZL20rocblas_tpmvn_kernelILi512EPKfPfS2_EvbbiT0_llT1_lllT2_li,@function
_ZL20rocblas_tpmvn_kernelILi512EPKfPfS2_EvbbiT0_llT1_lllT2_li: ; @_ZL20rocblas_tpmvn_kernelILi512EPKfPfS2_EvbbiT0_llT1_lllT2_li
; %bb.0:
	s_load_b32 s33, s[0:1], 0x50
	s_bfe_u32 s2, ttmp6, 0x40014
	s_lshr_b32 s3, ttmp7, 16
	s_add_co_i32 s2, s2, 1
	s_bfe_u32 s5, ttmp6, 0x40008
	s_mul_i32 s4, s3, s2
	s_getreg_b32 s2, hwreg(HW_REG_IB_STS2, 6, 4)
	s_add_co_i32 s5, s5, s4
	s_cmp_eq_u32 s2, 0
	s_mov_b32 s21, 0
	s_cselect_b32 s20, s3, s5
	s_wait_kmcnt 0x0
	s_cmp_ge_u32 s20, s33
	s_cbranch_scc1 .LBB0_21
; %bb.1:
	s_clause 0x3
	s_load_b32 s3, s[0:1], 0x0
	s_load_b64 s[22:23], s[0:1], 0x0
	s_load_b512 s[4:19], s[0:1], 0x8
	s_load_b32 s28, s[0:1], 0x64
	s_wait_kmcnt 0x0
	s_bitcmp1_b32 s3, 0
	s_cselect_b32 s3, -1, 0
	s_delay_alu instid0(SALU_CYCLE_1)
	s_xor_b32 s38, s3, -1
	s_bitcmp1_b32 s22, 8
	s_cselect_b32 s3, -1, 0
	s_lshl_b64 s[24:25], s[6:7], 2
	s_bfe_u32 s6, ttmp6, 0x4000c
	s_lshl_b64 s[26:27], s[12:13], 2
	s_add_co_i32 s6, s6, 1
	s_and_b32 s12, ttmp6, 15
	s_mul_i32 s6, ttmp9, s6
	s_and_b32 s7, s28, 0xffff
	s_xor_b32 s22, s3, -1
	s_add_co_i32 s12, s12, s6
	s_cmp_eq_u32 s2, 0
	s_mov_b32 s6, s23
	s_cselect_b32 s2, ttmp9, s12
	s_load_b64 s[12:13], s[0:1], 0x48
	v_mad_u32 v0, s2, s7, v0
	s_ashr_i32 s7, s23, 31
	s_add_nc_u64 s[10:11], s[10:11], s[26:27]
	v_cndmask_b32_e64 v26, 0, 1, s22
	s_add_nc_u64 s[4:5], s[4:5], s[24:25]
	s_delay_alu instid0(VALU_DEP_2)
	v_dual_ashrrev_i32 v1, 31, v0 :: v_dual_add_nc_u32 v2, 1, v0
	v_add_nc_u32_e32 v6, 2, v0
	s_wait_xcnt 0x0
	v_cmp_gt_i32_e64 s0, s23, v0
	v_cmp_lt_i32_e64 s1, 0, v0
	v_add_nc_u64_e32 v[4:5], -1, v[0:1]
	v_ashrrev_i32_e32 v3, 31, v2
	v_mul_u64_e32 v[12:13], s[6:7], v[0:1]
	v_cmp_gt_i32_e64 s2, s23, v2
	v_ashrrev_i32_e32 v7, 31, v6
	s_delay_alu instid0(VALU_DEP_4) | instskip(SKIP_4) | instid1(VALU_DEP_4)
	v_mul_u64_e32 v[10:11], v[2:3], v[0:1]
	v_mul_u64_e32 v[8:9], v[4:5], v[0:1]
	;; [unrolled: 1-line block ×4, first 2 shown]
	s_lshl_b64 s[14:15], s[14:15], 2
	v_lshrrev_b64 v[10:11], 1, v[10:11]
	s_delay_alu instid0(VALU_DEP_4) | instskip(SKIP_3) | instid1(VALU_DEP_3)
	v_lshrrev_b64 v[16:17], 1, v[8:9]
	v_lshl_add_u64 v[8:9], v[0:1], 2, s[18:19]
	v_lshl_add_u64 v[14:15], v[14:15], 2, s[10:11]
	s_lshl_b64 s[18:19], s[16:17], 2
	v_sub_nc_u64_e32 v[12:13], v[12:13], v[16:17]
	v_mov_b32_e32 v17, 0
	s_branch .LBB0_5
.LBB0_2:                                ;   in Loop: Header=BB0_5 Depth=1
	s_or_b32 exec_lo, exec_lo, s3
	s_wait_loadcnt 0x0
	v_mov_b32_e32 v18, v27
.LBB0_3:                                ;   in Loop: Header=BB0_5 Depth=1
	s_wait_kmcnt 0x0
	s_mul_u64 s[24:25], s[12:13], s[20:21]
	s_delay_alu instid0(SALU_CYCLE_1)
	v_lshl_add_u64 v[20:21], s[24:25], 2, v[8:9]
	global_store_b32 v[20:21], v18, off
.LBB0_4:                                ;   in Loop: Header=BB0_5 Depth=1
	s_wait_xcnt 0x0
	s_or_b32 exec_lo, exec_lo, s39
	s_add_co_i32 s20, s20, 0x10000
	s_delay_alu instid0(SALU_CYCLE_1)
	s_cmp_lt_u32 s20, s33
	s_cbranch_scc0 .LBB0_21
.LBB0_5:                                ; =>This Loop Header: Depth=1
                                        ;     Child Loop BB0_11 Depth 2
                                        ;     Child Loop BB0_19 Depth 2
	s_and_saveexec_b32 s39, s0
	s_cbranch_execz .LBB0_4
; %bb.6:                                ;   in Loop: Header=BB0_5 Depth=1
	s_mul_u64 s[24:25], s[16:17], s[20:21]
	v_cmp_ne_u32_e64 s3, 1, v26
	s_lshl_b64 s[24:25], s[24:25], 2
	s_and_b32 vcc_lo, exec_lo, s38
	s_add_nc_u64 s[24:25], s[10:11], s[24:25]
	s_mov_b32 s28, -1
	v_lshl_add_u64 v[18:19], v[4:5], 2, s[24:25]
	s_mul_u64 s[24:25], s[8:9], s[20:21]
	s_delay_alu instid0(SALU_CYCLE_1)
	s_lshl_b64 s[26:27], s[24:25], 2
	s_mul_u64 s[24:25], s[18:19], s[20:21]
	s_wait_loadcnt 0x0
	global_load_b32 v27, v[18:19], off
	s_add_nc_u64 s[26:27], s[4:5], s[26:27]
                                        ; implicit-def: $vgpr18
	s_cbranch_vccz .LBB0_14
; %bb.7:                                ;   in Loop: Header=BB0_5 Depth=1
	s_wait_loadcnt 0x0
	s_wait_xcnt 0x0
	v_mov_b32_e32 v18, v27
	s_and_b32 vcc_lo, exec_lo, s3
	s_cbranch_vccnz .LBB0_9
; %bb.8:                                ;   in Loop: Header=BB0_5 Depth=1
	v_lshl_add_u64 v[18:19], v[12:13], 2, s[26:27]
	global_load_b32 v16, v[18:19], off
	s_wait_loadcnt 0x0
	s_wait_xcnt 0x0
	v_mul_f32_e32 v18, v27, v16
.LBB0_9:                                ;   in Loop: Header=BB0_5 Depth=1
	s_and_saveexec_b32 s3, s1
	s_cbranch_execz .LBB0_13
; %bb.10:                               ;   in Loop: Header=BB0_5 Depth=1
	v_mov_b32_e32 v16, v0
	s_add_nc_u64 s[28:29], s[10:11], s[24:25]
	s_mov_b64 s[30:31], 0
	s_mov_b32 s40, 0
	s_mov_b64 s[36:37], 0
	s_mov_b64 s[34:35], 0
.LBB0_11:                               ;   Parent Loop BB0_5 Depth=1
                                        ; =>  This Inner Loop Header: Depth=2
	s_delay_alu instid0(SALU_CYCLE_1) | instskip(SKIP_3) | instid1(VALU_DEP_1)
	v_add_nc_u64_e32 v[20:21], s[34:35], v[16:17]
	s_lshr_b64 s[42:43], s[30:31], 1
	s_add_nc_u64 s[34:35], s[34:35], s[6:7]
	s_add_nc_u64 s[30:31], s[30:31], s[36:37]
	v_sub_nc_u64_e64 v[20:21], v[20:21], s[42:43]
	s_add_nc_u64 s[42:43], s[36:37], 2
	s_delay_alu instid0(SALU_CYCLE_1) | instskip(NEXT) | instid1(VALU_DEP_1)
	s_mov_b64 s[36:37], s[42:43]
	v_lshl_add_u64 v[20:21], v[20:21], 2, s[26:27]
	global_load_b32 v19, v17, s[28:29]
	global_load_b32 v22, v[20:21], off
	v_add_nc_u32_e32 v16, -1, v16
	s_wait_xcnt 0x1
	s_add_nc_u64 s[28:29], s[28:29], s[14:15]
	s_wait_loadcnt 0x0
	v_fmac_f32_e32 v18, v22, v19
	v_cmp_eq_u32_e32 vcc_lo, 0, v16
	s_or_b32 s40, vcc_lo, s40
	s_wait_xcnt 0x0
	s_and_not1_b32 exec_lo, exec_lo, s40
	s_cbranch_execnz .LBB0_11
; %bb.12:                               ;   in Loop: Header=BB0_5 Depth=1
	s_or_b32 exec_lo, exec_lo, s40
.LBB0_13:                               ;   in Loop: Header=BB0_5 Depth=1
	s_delay_alu instid0(SALU_CYCLE_1)
	s_or_b32 exec_lo, exec_lo, s3
	s_mov_b32 s28, 0
.LBB0_14:                               ;   in Loop: Header=BB0_5 Depth=1
	s_delay_alu instid0(SALU_CYCLE_1)
	s_and_b32 vcc_lo, exec_lo, s28
	s_cbranch_vccz .LBB0_3
; %bb.15:                               ;   in Loop: Header=BB0_5 Depth=1
	s_and_not1_b32 vcc_lo, exec_lo, s22
	s_cbranch_vccnz .LBB0_17
; %bb.16:                               ;   in Loop: Header=BB0_5 Depth=1
	s_wait_xcnt 0x0
	v_lshl_add_u64 v[18:19], v[10:11], 2, s[26:27]
	s_delay_alu instid0(VALU_DEP_1)
	v_lshl_add_u64 v[18:19], v[0:1], 2, v[18:19]
	global_load_b32 v16, v[18:19], off
	s_wait_loadcnt 0x0
	v_mul_f32_e32 v27, v27, v16
.LBB0_17:                               ;   in Loop: Header=BB0_5 Depth=1
	s_wait_xcnt 0x0
	s_and_saveexec_b32 s3, s2
	s_cbranch_execz .LBB0_2
; %bb.18:                               ;   in Loop: Header=BB0_5 Depth=1
	v_add_nc_u64_e32 v[20:21], s[24:25], v[14:15]
	v_mov_b64_e32 v[24:25], v[2:3]
	v_mov_b64_e32 v[22:23], v[6:7]
	v_lshl_add_u64 v[18:19], v[0:1], 2, s[26:27]
	s_mov_b32 s24, 0
.LBB0_19:                               ;   Parent Loop BB0_5 Depth=1
                                        ; =>  This Inner Loop Header: Depth=2
	s_delay_alu instid0(VALU_DEP_2) | instskip(SKIP_2) | instid1(VALU_DEP_2)
	v_mul_u64_e32 v[28:29], v[22:23], v[24:25]
	v_add_nc_u64_e32 v[24:25], 1, v[24:25]
	v_add_nc_u64_e32 v[22:23], 1, v[22:23]
	v_cmp_le_i32_e32 vcc_lo, s23, v24
	s_or_b32 s24, vcc_lo, s24
	s_delay_alu instid0(VALU_DEP_4) | instskip(NEXT) | instid1(VALU_DEP_1)
	v_lshlrev_b64_e32 v[28:29], 1, v[28:29]
	v_and_b32_e32 v28, -4, v28
	s_delay_alu instid0(VALU_DEP_1)
	v_add_nc_u64_e32 v[28:29], v[18:19], v[28:29]
	global_load_b32 v16, v[20:21], off
	global_load_b32 v30, v[28:29], off
	s_wait_xcnt 0x1
	v_add_nc_u64_e32 v[20:21], s[14:15], v[20:21]
	s_wait_loadcnt 0x0
	v_fmac_f32_e32 v27, v30, v16
	s_wait_xcnt 0x0
	s_and_not1_b32 exec_lo, exec_lo, s24
	s_cbranch_execnz .LBB0_19
; %bb.20:                               ;   in Loop: Header=BB0_5 Depth=1
	s_or_b32 exec_lo, exec_lo, s24
	s_branch .LBB0_2
.LBB0_21:
	s_endpgm
	.section	.rodata,"a",@progbits
	.p2align	6, 0x0
	.amdhsa_kernel _ZL20rocblas_tpmvn_kernelILi512EPKfPfS2_EvbbiT0_llT1_lllT2_li
		.amdhsa_group_segment_fixed_size 0
		.amdhsa_private_segment_fixed_size 0
		.amdhsa_kernarg_size 344
		.amdhsa_user_sgpr_count 2
		.amdhsa_user_sgpr_dispatch_ptr 0
		.amdhsa_user_sgpr_queue_ptr 0
		.amdhsa_user_sgpr_kernarg_segment_ptr 1
		.amdhsa_user_sgpr_dispatch_id 0
		.amdhsa_user_sgpr_kernarg_preload_length 0
		.amdhsa_user_sgpr_kernarg_preload_offset 0
		.amdhsa_user_sgpr_private_segment_size 0
		.amdhsa_wavefront_size32 1
		.amdhsa_uses_dynamic_stack 0
		.amdhsa_enable_private_segment 0
		.amdhsa_system_sgpr_workgroup_id_x 1
		.amdhsa_system_sgpr_workgroup_id_y 0
		.amdhsa_system_sgpr_workgroup_id_z 1
		.amdhsa_system_sgpr_workgroup_info 0
		.amdhsa_system_vgpr_workitem_id 0
		.amdhsa_next_free_vgpr 31
		.amdhsa_next_free_sgpr 44
		.amdhsa_named_barrier_count 0
		.amdhsa_reserve_vcc 1
		.amdhsa_float_round_mode_32 0
		.amdhsa_float_round_mode_16_64 0
		.amdhsa_float_denorm_mode_32 3
		.amdhsa_float_denorm_mode_16_64 3
		.amdhsa_fp16_overflow 0
		.amdhsa_memory_ordered 1
		.amdhsa_forward_progress 1
		.amdhsa_inst_pref_size 8
		.amdhsa_round_robin_scheduling 0
		.amdhsa_exception_fp_ieee_invalid_op 0
		.amdhsa_exception_fp_denorm_src 0
		.amdhsa_exception_fp_ieee_div_zero 0
		.amdhsa_exception_fp_ieee_overflow 0
		.amdhsa_exception_fp_ieee_underflow 0
		.amdhsa_exception_fp_ieee_inexact 0
		.amdhsa_exception_int_div_zero 0
	.end_amdhsa_kernel
	.section	.text._ZL20rocblas_tpmvn_kernelILi512EPKfPfS2_EvbbiT0_llT1_lllT2_li,"axG",@progbits,_ZL20rocblas_tpmvn_kernelILi512EPKfPfS2_EvbbiT0_llT1_lllT2_li,comdat
.Lfunc_end0:
	.size	_ZL20rocblas_tpmvn_kernelILi512EPKfPfS2_EvbbiT0_llT1_lllT2_li, .Lfunc_end0-_ZL20rocblas_tpmvn_kernelILi512EPKfPfS2_EvbbiT0_llT1_lllT2_li
                                        ; -- End function
	.set _ZL20rocblas_tpmvn_kernelILi512EPKfPfS2_EvbbiT0_llT1_lllT2_li.num_vgpr, 31
	.set _ZL20rocblas_tpmvn_kernelILi512EPKfPfS2_EvbbiT0_llT1_lllT2_li.num_agpr, 0
	.set _ZL20rocblas_tpmvn_kernelILi512EPKfPfS2_EvbbiT0_llT1_lllT2_li.numbered_sgpr, 44
	.set _ZL20rocblas_tpmvn_kernelILi512EPKfPfS2_EvbbiT0_llT1_lllT2_li.num_named_barrier, 0
	.set _ZL20rocblas_tpmvn_kernelILi512EPKfPfS2_EvbbiT0_llT1_lllT2_li.private_seg_size, 0
	.set _ZL20rocblas_tpmvn_kernelILi512EPKfPfS2_EvbbiT0_llT1_lllT2_li.uses_vcc, 1
	.set _ZL20rocblas_tpmvn_kernelILi512EPKfPfS2_EvbbiT0_llT1_lllT2_li.uses_flat_scratch, 0
	.set _ZL20rocblas_tpmvn_kernelILi512EPKfPfS2_EvbbiT0_llT1_lllT2_li.has_dyn_sized_stack, 0
	.set _ZL20rocblas_tpmvn_kernelILi512EPKfPfS2_EvbbiT0_llT1_lllT2_li.has_recursion, 0
	.set _ZL20rocblas_tpmvn_kernelILi512EPKfPfS2_EvbbiT0_llT1_lllT2_li.has_indirect_call, 0
	.section	.AMDGPU.csdata,"",@progbits
; Kernel info:
; codeLenInByte = 940
; TotalNumSgprs: 46
; NumVgprs: 31
; ScratchSize: 0
; MemoryBound: 0
; FloatMode: 240
; IeeeMode: 1
; LDSByteSize: 0 bytes/workgroup (compile time only)
; SGPRBlocks: 0
; VGPRBlocks: 1
; NumSGPRsForWavesPerEU: 46
; NumVGPRsForWavesPerEU: 31
; NamedBarCnt: 0
; Occupancy: 16
; WaveLimiterHint : 0
; COMPUTE_PGM_RSRC2:SCRATCH_EN: 0
; COMPUTE_PGM_RSRC2:USER_SGPR: 2
; COMPUTE_PGM_RSRC2:TRAP_HANDLER: 0
; COMPUTE_PGM_RSRC2:TGID_X_EN: 1
; COMPUTE_PGM_RSRC2:TGID_Y_EN: 0
; COMPUTE_PGM_RSRC2:TGID_Z_EN: 1
; COMPUTE_PGM_RSRC2:TIDIG_COMP_CNT: 0
	.section	.text._ZL20rocblas_tpmvt_kernelILi512EPKfPfS2_EvbbiT0_llT1_lllT2_li,"axG",@progbits,_ZL20rocblas_tpmvt_kernelILi512EPKfPfS2_EvbbiT0_llT1_lllT2_li,comdat
	.globl	_ZL20rocblas_tpmvt_kernelILi512EPKfPfS2_EvbbiT0_llT1_lllT2_li ; -- Begin function _ZL20rocblas_tpmvt_kernelILi512EPKfPfS2_EvbbiT0_llT1_lllT2_li
	.p2align	8
	.type	_ZL20rocblas_tpmvt_kernelILi512EPKfPfS2_EvbbiT0_llT1_lllT2_li,@function
_ZL20rocblas_tpmvt_kernelILi512EPKfPfS2_EvbbiT0_llT1_lllT2_li: ; @_ZL20rocblas_tpmvt_kernelILi512EPKfPfS2_EvbbiT0_llT1_lllT2_li
; %bb.0:
	s_load_b32 s30, s[0:1], 0x50
	s_bfe_u32 s2, ttmp6, 0x40014
	s_lshr_b32 s3, ttmp7, 16
	s_add_co_i32 s2, s2, 1
	s_bfe_u32 s5, ttmp6, 0x40008
	s_mul_i32 s4, s3, s2
	s_getreg_b32 s2, hwreg(HW_REG_IB_STS2, 6, 4)
	s_add_co_i32 s5, s5, s4
	s_cmp_eq_u32 s2, 0
	s_mov_b32 s21, 0
	s_cselect_b32 s20, s3, s5
	s_wait_kmcnt 0x0
	s_cmp_ge_u32 s20, s30
	s_cbranch_scc1 .LBB1_21
; %bb.1:
	s_clause 0x3
	s_load_b32 s3, s[0:1], 0x0
	s_load_b64 s[22:23], s[0:1], 0x0
	s_load_b512 s[4:19], s[0:1], 0x8
	s_load_b32 s28, s[0:1], 0x64
	s_wait_kmcnt 0x0
	s_bitcmp1_b32 s3, 0
	s_cselect_b32 s3, -1, 0
	s_delay_alu instid0(SALU_CYCLE_1)
	s_xor_b32 s31, s3, -1
	s_bitcmp1_b32 s22, 8
	s_cselect_b32 s3, -1, 0
	s_lshl_b64 s[24:25], s[6:7], 2
	s_bfe_u32 s6, ttmp6, 0x4000c
	s_lshl_b64 s[26:27], s[12:13], 2
	s_add_co_i32 s6, s6, 1
	s_and_b32 s12, ttmp6, 15
	s_mul_i32 s6, ttmp9, s6
	s_and_b32 s7, s28, 0xffff
	s_xor_b32 s22, s3, -1
	s_add_co_i32 s12, s12, s6
	s_cmp_eq_u32 s2, 0
	s_add_nc_u64 s[10:11], s[10:11], s[26:27]
	s_cselect_b32 s2, ttmp9, s12
	s_ashr_i32 s3, s23, 31
	v_mad_u32 v0, s2, s7, v0
	s_mov_b32 s2, s23
	s_add_nc_u64 s[12:13], s[4:5], s[24:25]
	s_lshl_b64 s[6:7], s[2:3], 2
	s_delay_alu instid0(SALU_CYCLE_1) | instskip(NEXT) | instid1(VALU_DEP_1)
	s_add_nc_u64 s[6:7], s[6:7], -4
	v_dual_ashrrev_i32 v1, 31, v0 :: v_dual_add_nc_u32 v2, 1, v0
	v_mad_nc_u64_u32 v[10:11], s6, v0, s[24:25]
	s_delay_alu instid0(VALU_DEP_2) | instskip(NEXT) | instid1(VALU_DEP_3)
	v_add_nc_u64_e32 v[4:5], -1, v[0:1]
	v_ashrrev_i32_e32 v3, 31, v2
	v_mul_u64_e32 v[16:17], s[2:3], v[0:1]
	v_mul_u64_e32 v[6:7], s[14:15], v[0:1]
	v_cmp_gt_i32_e64 s2, s23, v2
	s_delay_alu instid0(VALU_DEP_4) | instskip(SKIP_4) | instid1(VALU_DEP_2)
	v_mul_u64_e32 v[14:15], v[2:3], v[0:1]
	v_mul_u64_e32 v[8:9], v[4:5], v[0:1]
	v_dual_mov_b32 v5, 0 :: v_dual_mov_b32 v4, v2
	v_mul_u64_e32 v[18:19], s[14:15], v[2:3]
	s_lshl_b64 s[14:15], s[14:15], 2
	v_mul_u64_e32 v[12:13], v[4:5], v[0:1]
	v_mad_u32 v4, s7, v0, v11
	s_delay_alu instid0(VALU_DEP_1) | instskip(SKIP_4) | instid1(VALU_DEP_3)
	v_mad_u32 v11, s6, v1, v4
	s_load_b64 s[6:7], s[0:1], 0x48
	s_wait_xcnt 0x0
	v_cmp_gt_i32_e64 s0, s23, v0
	v_cmp_lt_i32_e64 s1, 0, v0
	v_lshl_add_u64 v[10:11], v[2:3], 2, v[10:11]
	v_cndmask_b32_e64 v3, 0, 1, s22
	v_lshrrev_b64 v[20:21], 1, v[8:9]
	v_lshl_add_u64 v[18:19], v[18:19], 2, s[10:11]
	s_delay_alu instid0(VALU_DEP_2) | instskip(SKIP_2) | instid1(VALU_DEP_3)
	v_lshlrev_b64_e32 v[8:9], 2, v[20:21]
	v_lshlrev_b64_e32 v[22:23], 1, v[12:13]
	v_sub_nc_u64_e32 v[12:13], v[16:17], v[20:21]
	v_sub_nc_u64_e32 v[24:25], v[10:11], v[8:9]
	s_delay_alu instid0(VALU_DEP_3) | instskip(SKIP_3) | instid1(VALU_DEP_3)
	v_and_b32_e32 v22, -4, v22
	v_lshrrev_b64 v[10:11], 1, v[14:15]
	v_lshl_add_u64 v[8:9], v[0:1], 2, s[18:19]
	s_lshl_b64 s[18:19], s[8:9], 2
	v_add_nc_u64_e32 v[16:17], s[12:13], v[22:23]
	v_add_nc_u64_e32 v[14:15], s[4:5], v[24:25]
	s_lshl_b64 s[4:5], s[16:17], 2
	s_branch .LBB1_5
.LBB1_2:                                ;   in Loop: Header=BB1_5 Depth=1
	s_or_b32 exec_lo, exec_lo, s3
	s_wait_loadcnt 0x0
	v_mov_b32_e32 v24, v4
.LBB1_3:                                ;   in Loop: Header=BB1_5 Depth=1
	s_wait_kmcnt 0x0
	s_mul_u64 s[24:25], s[6:7], s[20:21]
	s_wait_xcnt 0x0
	v_lshl_add_u64 v[20:21], s[24:25], 2, v[8:9]
	global_store_b32 v[20:21], v24, off
.LBB1_4:                                ;   in Loop: Header=BB1_5 Depth=1
	s_wait_xcnt 0x0
	s_or_b32 exec_lo, exec_lo, s33
	s_add_co_i32 s20, s20, 0x10000
	s_delay_alu instid0(SALU_CYCLE_1)
	s_cmp_lt_u32 s20, s30
	s_cbranch_scc0 .LBB1_21
.LBB1_5:                                ; =>This Loop Header: Depth=1
                                        ;     Child Loop BB1_11 Depth 2
                                        ;     Child Loop BB1_19 Depth 2
	s_and_saveexec_b32 s33, s0
	s_cbranch_execz .LBB1_4
; %bb.6:                                ;   in Loop: Header=BB1_5 Depth=1
	s_mul_u64 s[24:25], s[16:17], s[20:21]
	v_cmp_ne_u32_e64 s3, 1, v3
	s_lshl_b64 s[24:25], s[24:25], 2
	s_mul_u64 s[26:27], s[18:19], s[20:21]
	s_add_nc_u64 s[24:25], s[10:11], s[24:25]
	s_and_b32 vcc_lo, exec_lo, s31
	v_lshl_add_u64 v[20:21], v[6:7], 2, s[24:25]
	s_mul_u64 s[24:25], s[8:9], s[20:21]
	s_mov_b32 s34, -1
	s_lshl_b64 s[28:29], s[24:25], 2
	s_mul_u64 s[24:25], s[4:5], s[20:21]
	s_wait_loadcnt 0x0
	global_load_b32 v4, v[20:21], off
	s_add_nc_u64 s[28:29], s[12:13], s[28:29]
                                        ; implicit-def: $vgpr24
	s_cbranch_vccz .LBB1_14
; %bb.7:                                ;   in Loop: Header=BB1_5 Depth=1
	s_wait_loadcnt 0x0
	v_mov_b32_e32 v24, v4
	s_and_b32 vcc_lo, exec_lo, s3
	s_cbranch_vccnz .LBB1_9
; %bb.8:                                ;   in Loop: Header=BB1_5 Depth=1
	s_wait_xcnt 0x0
	v_lshl_add_u64 v[20:21], v[12:13], 2, s[28:29]
	global_load_b32 v20, v[20:21], off
	s_wait_loadcnt 0x0
	v_mul_f32_e32 v24, v4, v20
.LBB1_9:                                ;   in Loop: Header=BB1_5 Depth=1
	s_wait_xcnt 0x0
	s_and_saveexec_b32 s3, s2
	s_cbranch_execz .LBB1_13
; %bb.10:                               ;   in Loop: Header=BB1_5 Depth=1
	v_add_nc_u64_e32 v[20:21], s[24:25], v[18:19]
	v_add_nc_u64_e32 v[22:23], s[26:27], v[14:15]
	v_mov_b32_e32 v25, v2
	s_mov_b32 s34, 0
.LBB1_11:                               ;   Parent Loop BB1_5 Depth=1
                                        ; =>  This Inner Loop Header: Depth=2
	global_load_b32 v26, v[22:23], off
	global_load_b32 v27, v[20:21], off
	v_add_nc_u32_e32 v25, 1, v25
	s_wait_xcnt 0x0
	v_add_nc_u64_e32 v[20:21], s[14:15], v[20:21]
	v_add_nc_u64_e32 v[22:23], 4, v[22:23]
	s_wait_loadcnt 0x0
	v_fmac_f32_e32 v24, v26, v27
	v_cmp_le_i32_e32 vcc_lo, s23, v25
	s_or_b32 s34, vcc_lo, s34
	s_delay_alu instid0(SALU_CYCLE_1)
	s_and_not1_b32 exec_lo, exec_lo, s34
	s_cbranch_execnz .LBB1_11
; %bb.12:                               ;   in Loop: Header=BB1_5 Depth=1
	s_or_b32 exec_lo, exec_lo, s34
.LBB1_13:                               ;   in Loop: Header=BB1_5 Depth=1
	s_delay_alu instid0(SALU_CYCLE_1)
	s_or_b32 exec_lo, exec_lo, s3
	s_mov_b32 s34, 0
.LBB1_14:                               ;   in Loop: Header=BB1_5 Depth=1
	s_delay_alu instid0(SALU_CYCLE_1)
	s_and_b32 vcc_lo, exec_lo, s34
	s_cbranch_vccz .LBB1_3
; %bb.15:                               ;   in Loop: Header=BB1_5 Depth=1
	s_and_not1_b32 vcc_lo, exec_lo, s22
	s_cbranch_vccnz .LBB1_17
; %bb.16:                               ;   in Loop: Header=BB1_5 Depth=1
	s_wait_xcnt 0x0
	v_lshl_add_u64 v[20:21], v[10:11], 2, s[28:29]
	s_delay_alu instid0(VALU_DEP_1)
	v_lshl_add_u64 v[20:21], v[0:1], 2, v[20:21]
	global_load_b32 v20, v[20:21], off
	s_wait_loadcnt 0x0
	v_mul_f32_e32 v4, v4, v20
.LBB1_17:                               ;   in Loop: Header=BB1_5 Depth=1
	s_wait_xcnt 0x0
	s_and_saveexec_b32 s3, s1
	s_cbranch_execz .LBB1_2
; %bb.18:                               ;   in Loop: Header=BB1_5 Depth=1
	v_add_nc_u64_e32 v[20:21], s[26:27], v[16:17]
	v_mov_b32_e32 v22, v0
	s_add_nc_u64 s[24:25], s[10:11], s[24:25]
	s_mov_b32 s26, 0
.LBB1_19:                               ;   Parent Loop BB1_5 Depth=1
                                        ; =>  This Inner Loop Header: Depth=2
	global_load_b32 v23, v[20:21], off
	global_load_b32 v24, v5, s[24:25]
	v_add_nc_u32_e32 v22, -1, v22
	s_wait_xcnt 0x1
	v_add_nc_u64_e32 v[20:21], 4, v[20:21]
	s_wait_xcnt 0x0
	s_add_nc_u64 s[24:25], s[24:25], s[14:15]
	s_wait_loadcnt 0x0
	v_fmac_f32_e32 v4, v23, v24
	v_cmp_eq_u32_e32 vcc_lo, 0, v22
	s_or_b32 s26, vcc_lo, s26
	s_delay_alu instid0(SALU_CYCLE_1)
	s_and_not1_b32 exec_lo, exec_lo, s26
	s_cbranch_execnz .LBB1_19
; %bb.20:                               ;   in Loop: Header=BB1_5 Depth=1
	s_or_b32 exec_lo, exec_lo, s26
	s_branch .LBB1_2
.LBB1_21:
	s_endpgm
	.section	.rodata,"a",@progbits
	.p2align	6, 0x0
	.amdhsa_kernel _ZL20rocblas_tpmvt_kernelILi512EPKfPfS2_EvbbiT0_llT1_lllT2_li
		.amdhsa_group_segment_fixed_size 0
		.amdhsa_private_segment_fixed_size 0
		.amdhsa_kernarg_size 344
		.amdhsa_user_sgpr_count 2
		.amdhsa_user_sgpr_dispatch_ptr 0
		.amdhsa_user_sgpr_queue_ptr 0
		.amdhsa_user_sgpr_kernarg_segment_ptr 1
		.amdhsa_user_sgpr_dispatch_id 0
		.amdhsa_user_sgpr_kernarg_preload_length 0
		.amdhsa_user_sgpr_kernarg_preload_offset 0
		.amdhsa_user_sgpr_private_segment_size 0
		.amdhsa_wavefront_size32 1
		.amdhsa_uses_dynamic_stack 0
		.amdhsa_enable_private_segment 0
		.amdhsa_system_sgpr_workgroup_id_x 1
		.amdhsa_system_sgpr_workgroup_id_y 0
		.amdhsa_system_sgpr_workgroup_id_z 1
		.amdhsa_system_sgpr_workgroup_info 0
		.amdhsa_system_vgpr_workitem_id 0
		.amdhsa_next_free_vgpr 28
		.amdhsa_next_free_sgpr 35
		.amdhsa_named_barrier_count 0
		.amdhsa_reserve_vcc 1
		.amdhsa_float_round_mode_32 0
		.amdhsa_float_round_mode_16_64 0
		.amdhsa_float_denorm_mode_32 3
		.amdhsa_float_denorm_mode_16_64 3
		.amdhsa_fp16_overflow 0
		.amdhsa_memory_ordered 1
		.amdhsa_forward_progress 1
		.amdhsa_inst_pref_size 8
		.amdhsa_round_robin_scheduling 0
		.amdhsa_exception_fp_ieee_invalid_op 0
		.amdhsa_exception_fp_denorm_src 0
		.amdhsa_exception_fp_ieee_div_zero 0
		.amdhsa_exception_fp_ieee_overflow 0
		.amdhsa_exception_fp_ieee_underflow 0
		.amdhsa_exception_fp_ieee_inexact 0
		.amdhsa_exception_int_div_zero 0
	.end_amdhsa_kernel
	.section	.text._ZL20rocblas_tpmvt_kernelILi512EPKfPfS2_EvbbiT0_llT1_lllT2_li,"axG",@progbits,_ZL20rocblas_tpmvt_kernelILi512EPKfPfS2_EvbbiT0_llT1_lllT2_li,comdat
.Lfunc_end1:
	.size	_ZL20rocblas_tpmvt_kernelILi512EPKfPfS2_EvbbiT0_llT1_lllT2_li, .Lfunc_end1-_ZL20rocblas_tpmvt_kernelILi512EPKfPfS2_EvbbiT0_llT1_lllT2_li
                                        ; -- End function
	.set _ZL20rocblas_tpmvt_kernelILi512EPKfPfS2_EvbbiT0_llT1_lllT2_li.num_vgpr, 28
	.set _ZL20rocblas_tpmvt_kernelILi512EPKfPfS2_EvbbiT0_llT1_lllT2_li.num_agpr, 0
	.set _ZL20rocblas_tpmvt_kernelILi512EPKfPfS2_EvbbiT0_llT1_lllT2_li.numbered_sgpr, 35
	.set _ZL20rocblas_tpmvt_kernelILi512EPKfPfS2_EvbbiT0_llT1_lllT2_li.num_named_barrier, 0
	.set _ZL20rocblas_tpmvt_kernelILi512EPKfPfS2_EvbbiT0_llT1_lllT2_li.private_seg_size, 0
	.set _ZL20rocblas_tpmvt_kernelILi512EPKfPfS2_EvbbiT0_llT1_lllT2_li.uses_vcc, 1
	.set _ZL20rocblas_tpmvt_kernelILi512EPKfPfS2_EvbbiT0_llT1_lllT2_li.uses_flat_scratch, 0
	.set _ZL20rocblas_tpmvt_kernelILi512EPKfPfS2_EvbbiT0_llT1_lllT2_li.has_dyn_sized_stack, 0
	.set _ZL20rocblas_tpmvt_kernelILi512EPKfPfS2_EvbbiT0_llT1_lllT2_li.has_recursion, 0
	.set _ZL20rocblas_tpmvt_kernelILi512EPKfPfS2_EvbbiT0_llT1_lllT2_li.has_indirect_call, 0
	.section	.AMDGPU.csdata,"",@progbits
; Kernel info:
; codeLenInByte = 936
; TotalNumSgprs: 37
; NumVgprs: 28
; ScratchSize: 0
; MemoryBound: 0
; FloatMode: 240
; IeeeMode: 1
; LDSByteSize: 0 bytes/workgroup (compile time only)
; SGPRBlocks: 0
; VGPRBlocks: 1
; NumSGPRsForWavesPerEU: 37
; NumVGPRsForWavesPerEU: 28
; NamedBarCnt: 0
; Occupancy: 16
; WaveLimiterHint : 0
; COMPUTE_PGM_RSRC2:SCRATCH_EN: 0
; COMPUTE_PGM_RSRC2:USER_SGPR: 2
; COMPUTE_PGM_RSRC2:TRAP_HANDLER: 0
; COMPUTE_PGM_RSRC2:TGID_X_EN: 1
; COMPUTE_PGM_RSRC2:TGID_Y_EN: 0
; COMPUTE_PGM_RSRC2:TGID_Z_EN: 1
; COMPUTE_PGM_RSRC2:TIDIG_COMP_CNT: 0
	.section	.text._ZL20rocblas_tpmvc_kernelILi512EPKfPfS2_EvbbiT0_llT1_lllT2_li,"axG",@progbits,_ZL20rocblas_tpmvc_kernelILi512EPKfPfS2_EvbbiT0_llT1_lllT2_li,comdat
	.globl	_ZL20rocblas_tpmvc_kernelILi512EPKfPfS2_EvbbiT0_llT1_lllT2_li ; -- Begin function _ZL20rocblas_tpmvc_kernelILi512EPKfPfS2_EvbbiT0_llT1_lllT2_li
	.p2align	8
	.type	_ZL20rocblas_tpmvc_kernelILi512EPKfPfS2_EvbbiT0_llT1_lllT2_li,@function
_ZL20rocblas_tpmvc_kernelILi512EPKfPfS2_EvbbiT0_llT1_lllT2_li: ; @_ZL20rocblas_tpmvc_kernelILi512EPKfPfS2_EvbbiT0_llT1_lllT2_li
; %bb.0:
	s_load_b32 s30, s[0:1], 0x50
	s_bfe_u32 s2, ttmp6, 0x40014
	s_lshr_b32 s3, ttmp7, 16
	s_add_co_i32 s2, s2, 1
	s_bfe_u32 s5, ttmp6, 0x40008
	s_mul_i32 s4, s3, s2
	s_getreg_b32 s2, hwreg(HW_REG_IB_STS2, 6, 4)
	s_add_co_i32 s5, s5, s4
	s_cmp_eq_u32 s2, 0
	s_mov_b32 s21, 0
	s_cselect_b32 s20, s3, s5
	s_wait_kmcnt 0x0
	s_cmp_ge_u32 s20, s30
	s_cbranch_scc1 .LBB2_21
; %bb.1:
	s_clause 0x3
	s_load_b32 s3, s[0:1], 0x0
	s_load_b64 s[22:23], s[0:1], 0x0
	s_load_b512 s[4:19], s[0:1], 0x8
	s_load_b32 s28, s[0:1], 0x64
	s_wait_kmcnt 0x0
	s_bitcmp1_b32 s3, 0
	s_cselect_b32 s3, -1, 0
	s_delay_alu instid0(SALU_CYCLE_1)
	s_xor_b32 s31, s3, -1
	s_bitcmp1_b32 s22, 8
	s_cselect_b32 s3, -1, 0
	s_lshl_b64 s[24:25], s[6:7], 2
	s_bfe_u32 s6, ttmp6, 0x4000c
	s_lshl_b64 s[26:27], s[12:13], 2
	s_add_co_i32 s6, s6, 1
	s_and_b32 s12, ttmp6, 15
	s_mul_i32 s6, ttmp9, s6
	s_and_b32 s7, s28, 0xffff
	s_xor_b32 s22, s3, -1
	s_add_co_i32 s12, s12, s6
	s_cmp_eq_u32 s2, 0
	s_add_nc_u64 s[10:11], s[10:11], s[26:27]
	s_cselect_b32 s2, ttmp9, s12
	s_ashr_i32 s3, s23, 31
	v_mad_u32 v0, s2, s7, v0
	s_mov_b32 s2, s23
	s_add_nc_u64 s[12:13], s[4:5], s[24:25]
	s_lshl_b64 s[6:7], s[2:3], 2
	s_delay_alu instid0(SALU_CYCLE_1) | instskip(NEXT) | instid1(VALU_DEP_1)
	s_add_nc_u64 s[6:7], s[6:7], -4
	v_dual_ashrrev_i32 v1, 31, v0 :: v_dual_add_nc_u32 v2, 1, v0
	v_mad_nc_u64_u32 v[10:11], s6, v0, s[24:25]
	s_delay_alu instid0(VALU_DEP_2) | instskip(NEXT) | instid1(VALU_DEP_3)
	v_add_nc_u64_e32 v[4:5], -1, v[0:1]
	v_ashrrev_i32_e32 v3, 31, v2
	v_mul_u64_e32 v[16:17], s[2:3], v[0:1]
	v_mul_u64_e32 v[6:7], s[14:15], v[0:1]
	v_cmp_gt_i32_e64 s2, s23, v2
	s_delay_alu instid0(VALU_DEP_4) | instskip(SKIP_4) | instid1(VALU_DEP_2)
	v_mul_u64_e32 v[14:15], v[2:3], v[0:1]
	v_mul_u64_e32 v[8:9], v[4:5], v[0:1]
	v_dual_mov_b32 v5, 0 :: v_dual_mov_b32 v4, v2
	v_mul_u64_e32 v[18:19], s[14:15], v[2:3]
	s_lshl_b64 s[14:15], s[14:15], 2
	v_mul_u64_e32 v[12:13], v[4:5], v[0:1]
	v_mad_u32 v4, s7, v0, v11
	s_delay_alu instid0(VALU_DEP_1) | instskip(SKIP_4) | instid1(VALU_DEP_3)
	v_mad_u32 v11, s6, v1, v4
	s_load_b64 s[6:7], s[0:1], 0x48
	s_wait_xcnt 0x0
	v_cmp_gt_i32_e64 s0, s23, v0
	v_cmp_lt_i32_e64 s1, 0, v0
	v_lshl_add_u64 v[10:11], v[2:3], 2, v[10:11]
	v_cndmask_b32_e64 v3, 0, 1, s22
	v_lshrrev_b64 v[20:21], 1, v[8:9]
	v_lshl_add_u64 v[18:19], v[18:19], 2, s[10:11]
	s_delay_alu instid0(VALU_DEP_2) | instskip(SKIP_2) | instid1(VALU_DEP_3)
	v_lshlrev_b64_e32 v[8:9], 2, v[20:21]
	v_lshlrev_b64_e32 v[22:23], 1, v[12:13]
	v_sub_nc_u64_e32 v[12:13], v[16:17], v[20:21]
	v_sub_nc_u64_e32 v[24:25], v[10:11], v[8:9]
	s_delay_alu instid0(VALU_DEP_3) | instskip(SKIP_3) | instid1(VALU_DEP_3)
	v_and_b32_e32 v22, -4, v22
	v_lshrrev_b64 v[10:11], 1, v[14:15]
	v_lshl_add_u64 v[8:9], v[0:1], 2, s[18:19]
	s_lshl_b64 s[18:19], s[8:9], 2
	v_add_nc_u64_e32 v[16:17], s[12:13], v[22:23]
	v_add_nc_u64_e32 v[14:15], s[4:5], v[24:25]
	s_lshl_b64 s[4:5], s[16:17], 2
	s_branch .LBB2_5
.LBB2_2:                                ;   in Loop: Header=BB2_5 Depth=1
	s_or_b32 exec_lo, exec_lo, s3
	s_wait_loadcnt 0x0
	v_mov_b32_e32 v24, v4
.LBB2_3:                                ;   in Loop: Header=BB2_5 Depth=1
	s_wait_kmcnt 0x0
	s_mul_u64 s[24:25], s[6:7], s[20:21]
	s_wait_xcnt 0x0
	v_lshl_add_u64 v[20:21], s[24:25], 2, v[8:9]
	global_store_b32 v[20:21], v24, off
.LBB2_4:                                ;   in Loop: Header=BB2_5 Depth=1
	s_wait_xcnt 0x0
	s_or_b32 exec_lo, exec_lo, s33
	s_add_co_i32 s20, s20, 0x10000
	s_delay_alu instid0(SALU_CYCLE_1)
	s_cmp_lt_u32 s20, s30
	s_cbranch_scc0 .LBB2_21
.LBB2_5:                                ; =>This Loop Header: Depth=1
                                        ;     Child Loop BB2_11 Depth 2
                                        ;     Child Loop BB2_19 Depth 2
	s_and_saveexec_b32 s33, s0
	s_cbranch_execz .LBB2_4
; %bb.6:                                ;   in Loop: Header=BB2_5 Depth=1
	s_mul_u64 s[24:25], s[16:17], s[20:21]
	v_cmp_ne_u32_e64 s3, 1, v3
	s_lshl_b64 s[24:25], s[24:25], 2
	s_mul_u64 s[26:27], s[18:19], s[20:21]
	s_add_nc_u64 s[24:25], s[10:11], s[24:25]
	s_and_b32 vcc_lo, exec_lo, s31
	v_lshl_add_u64 v[20:21], v[6:7], 2, s[24:25]
	s_mul_u64 s[24:25], s[8:9], s[20:21]
	s_mov_b32 s34, -1
	s_lshl_b64 s[28:29], s[24:25], 2
	s_mul_u64 s[24:25], s[4:5], s[20:21]
	s_wait_loadcnt 0x0
	global_load_b32 v4, v[20:21], off
	s_add_nc_u64 s[28:29], s[12:13], s[28:29]
                                        ; implicit-def: $vgpr24
	s_cbranch_vccz .LBB2_14
; %bb.7:                                ;   in Loop: Header=BB2_5 Depth=1
	s_wait_loadcnt 0x0
	v_mov_b32_e32 v24, v4
	s_and_b32 vcc_lo, exec_lo, s3
	s_cbranch_vccnz .LBB2_9
; %bb.8:                                ;   in Loop: Header=BB2_5 Depth=1
	s_wait_xcnt 0x0
	v_lshl_add_u64 v[20:21], v[12:13], 2, s[28:29]
	global_load_b32 v20, v[20:21], off
	s_wait_loadcnt 0x0
	v_mul_f32_e32 v24, v4, v20
.LBB2_9:                                ;   in Loop: Header=BB2_5 Depth=1
	s_wait_xcnt 0x0
	s_and_saveexec_b32 s3, s2
	s_cbranch_execz .LBB2_13
; %bb.10:                               ;   in Loop: Header=BB2_5 Depth=1
	v_add_nc_u64_e32 v[20:21], s[24:25], v[18:19]
	v_add_nc_u64_e32 v[22:23], s[26:27], v[14:15]
	v_mov_b32_e32 v25, v2
	s_mov_b32 s34, 0
.LBB2_11:                               ;   Parent Loop BB2_5 Depth=1
                                        ; =>  This Inner Loop Header: Depth=2
	global_load_b32 v26, v[22:23], off
	global_load_b32 v27, v[20:21], off
	v_add_nc_u32_e32 v25, 1, v25
	s_wait_xcnt 0x0
	v_add_nc_u64_e32 v[20:21], s[14:15], v[20:21]
	v_add_nc_u64_e32 v[22:23], 4, v[22:23]
	s_wait_loadcnt 0x0
	v_fmac_f32_e32 v24, v26, v27
	v_cmp_le_i32_e32 vcc_lo, s23, v25
	s_or_b32 s34, vcc_lo, s34
	s_delay_alu instid0(SALU_CYCLE_1)
	s_and_not1_b32 exec_lo, exec_lo, s34
	s_cbranch_execnz .LBB2_11
; %bb.12:                               ;   in Loop: Header=BB2_5 Depth=1
	s_or_b32 exec_lo, exec_lo, s34
.LBB2_13:                               ;   in Loop: Header=BB2_5 Depth=1
	s_delay_alu instid0(SALU_CYCLE_1)
	s_or_b32 exec_lo, exec_lo, s3
	s_mov_b32 s34, 0
.LBB2_14:                               ;   in Loop: Header=BB2_5 Depth=1
	s_delay_alu instid0(SALU_CYCLE_1)
	s_and_b32 vcc_lo, exec_lo, s34
	s_cbranch_vccz .LBB2_3
; %bb.15:                               ;   in Loop: Header=BB2_5 Depth=1
	s_and_not1_b32 vcc_lo, exec_lo, s22
	s_cbranch_vccnz .LBB2_17
; %bb.16:                               ;   in Loop: Header=BB2_5 Depth=1
	s_wait_xcnt 0x0
	v_lshl_add_u64 v[20:21], v[10:11], 2, s[28:29]
	s_delay_alu instid0(VALU_DEP_1)
	v_lshl_add_u64 v[20:21], v[0:1], 2, v[20:21]
	global_load_b32 v20, v[20:21], off
	s_wait_loadcnt 0x0
	v_mul_f32_e32 v4, v4, v20
.LBB2_17:                               ;   in Loop: Header=BB2_5 Depth=1
	s_wait_xcnt 0x0
	s_and_saveexec_b32 s3, s1
	s_cbranch_execz .LBB2_2
; %bb.18:                               ;   in Loop: Header=BB2_5 Depth=1
	v_add_nc_u64_e32 v[20:21], s[26:27], v[16:17]
	v_mov_b32_e32 v22, v0
	s_add_nc_u64 s[24:25], s[10:11], s[24:25]
	s_mov_b32 s26, 0
.LBB2_19:                               ;   Parent Loop BB2_5 Depth=1
                                        ; =>  This Inner Loop Header: Depth=2
	global_load_b32 v23, v[20:21], off
	global_load_b32 v24, v5, s[24:25]
	v_add_nc_u32_e32 v22, -1, v22
	s_wait_xcnt 0x1
	v_add_nc_u64_e32 v[20:21], 4, v[20:21]
	s_wait_xcnt 0x0
	s_add_nc_u64 s[24:25], s[24:25], s[14:15]
	s_wait_loadcnt 0x0
	v_fmac_f32_e32 v4, v23, v24
	v_cmp_eq_u32_e32 vcc_lo, 0, v22
	s_or_b32 s26, vcc_lo, s26
	s_delay_alu instid0(SALU_CYCLE_1)
	s_and_not1_b32 exec_lo, exec_lo, s26
	s_cbranch_execnz .LBB2_19
; %bb.20:                               ;   in Loop: Header=BB2_5 Depth=1
	s_or_b32 exec_lo, exec_lo, s26
	s_branch .LBB2_2
.LBB2_21:
	s_endpgm
	.section	.rodata,"a",@progbits
	.p2align	6, 0x0
	.amdhsa_kernel _ZL20rocblas_tpmvc_kernelILi512EPKfPfS2_EvbbiT0_llT1_lllT2_li
		.amdhsa_group_segment_fixed_size 0
		.amdhsa_private_segment_fixed_size 0
		.amdhsa_kernarg_size 344
		.amdhsa_user_sgpr_count 2
		.amdhsa_user_sgpr_dispatch_ptr 0
		.amdhsa_user_sgpr_queue_ptr 0
		.amdhsa_user_sgpr_kernarg_segment_ptr 1
		.amdhsa_user_sgpr_dispatch_id 0
		.amdhsa_user_sgpr_kernarg_preload_length 0
		.amdhsa_user_sgpr_kernarg_preload_offset 0
		.amdhsa_user_sgpr_private_segment_size 0
		.amdhsa_wavefront_size32 1
		.amdhsa_uses_dynamic_stack 0
		.amdhsa_enable_private_segment 0
		.amdhsa_system_sgpr_workgroup_id_x 1
		.amdhsa_system_sgpr_workgroup_id_y 0
		.amdhsa_system_sgpr_workgroup_id_z 1
		.amdhsa_system_sgpr_workgroup_info 0
		.amdhsa_system_vgpr_workitem_id 0
		.amdhsa_next_free_vgpr 28
		.amdhsa_next_free_sgpr 35
		.amdhsa_named_barrier_count 0
		.amdhsa_reserve_vcc 1
		.amdhsa_float_round_mode_32 0
		.amdhsa_float_round_mode_16_64 0
		.amdhsa_float_denorm_mode_32 3
		.amdhsa_float_denorm_mode_16_64 3
		.amdhsa_fp16_overflow 0
		.amdhsa_memory_ordered 1
		.amdhsa_forward_progress 1
		.amdhsa_inst_pref_size 8
		.amdhsa_round_robin_scheduling 0
		.amdhsa_exception_fp_ieee_invalid_op 0
		.amdhsa_exception_fp_denorm_src 0
		.amdhsa_exception_fp_ieee_div_zero 0
		.amdhsa_exception_fp_ieee_overflow 0
		.amdhsa_exception_fp_ieee_underflow 0
		.amdhsa_exception_fp_ieee_inexact 0
		.amdhsa_exception_int_div_zero 0
	.end_amdhsa_kernel
	.section	.text._ZL20rocblas_tpmvc_kernelILi512EPKfPfS2_EvbbiT0_llT1_lllT2_li,"axG",@progbits,_ZL20rocblas_tpmvc_kernelILi512EPKfPfS2_EvbbiT0_llT1_lllT2_li,comdat
.Lfunc_end2:
	.size	_ZL20rocblas_tpmvc_kernelILi512EPKfPfS2_EvbbiT0_llT1_lllT2_li, .Lfunc_end2-_ZL20rocblas_tpmvc_kernelILi512EPKfPfS2_EvbbiT0_llT1_lllT2_li
                                        ; -- End function
	.set _ZL20rocblas_tpmvc_kernelILi512EPKfPfS2_EvbbiT0_llT1_lllT2_li.num_vgpr, 28
	.set _ZL20rocblas_tpmvc_kernelILi512EPKfPfS2_EvbbiT0_llT1_lllT2_li.num_agpr, 0
	.set _ZL20rocblas_tpmvc_kernelILi512EPKfPfS2_EvbbiT0_llT1_lllT2_li.numbered_sgpr, 35
	.set _ZL20rocblas_tpmvc_kernelILi512EPKfPfS2_EvbbiT0_llT1_lllT2_li.num_named_barrier, 0
	.set _ZL20rocblas_tpmvc_kernelILi512EPKfPfS2_EvbbiT0_llT1_lllT2_li.private_seg_size, 0
	.set _ZL20rocblas_tpmvc_kernelILi512EPKfPfS2_EvbbiT0_llT1_lllT2_li.uses_vcc, 1
	.set _ZL20rocblas_tpmvc_kernelILi512EPKfPfS2_EvbbiT0_llT1_lllT2_li.uses_flat_scratch, 0
	.set _ZL20rocblas_tpmvc_kernelILi512EPKfPfS2_EvbbiT0_llT1_lllT2_li.has_dyn_sized_stack, 0
	.set _ZL20rocblas_tpmvc_kernelILi512EPKfPfS2_EvbbiT0_llT1_lllT2_li.has_recursion, 0
	.set _ZL20rocblas_tpmvc_kernelILi512EPKfPfS2_EvbbiT0_llT1_lllT2_li.has_indirect_call, 0
	.section	.AMDGPU.csdata,"",@progbits
; Kernel info:
; codeLenInByte = 936
; TotalNumSgprs: 37
; NumVgprs: 28
; ScratchSize: 0
; MemoryBound: 0
; FloatMode: 240
; IeeeMode: 1
; LDSByteSize: 0 bytes/workgroup (compile time only)
; SGPRBlocks: 0
; VGPRBlocks: 1
; NumSGPRsForWavesPerEU: 37
; NumVGPRsForWavesPerEU: 28
; NamedBarCnt: 0
; Occupancy: 16
; WaveLimiterHint : 0
; COMPUTE_PGM_RSRC2:SCRATCH_EN: 0
; COMPUTE_PGM_RSRC2:USER_SGPR: 2
; COMPUTE_PGM_RSRC2:TRAP_HANDLER: 0
; COMPUTE_PGM_RSRC2:TGID_X_EN: 1
; COMPUTE_PGM_RSRC2:TGID_Y_EN: 0
; COMPUTE_PGM_RSRC2:TGID_Z_EN: 1
; COMPUTE_PGM_RSRC2:TIDIG_COMP_CNT: 0
	.section	.text._ZL20rocblas_tpmvn_kernelILi512EPKdPdS2_EvbbiT0_llT1_lllT2_li,"axG",@progbits,_ZL20rocblas_tpmvn_kernelILi512EPKdPdS2_EvbbiT0_llT1_lllT2_li,comdat
	.globl	_ZL20rocblas_tpmvn_kernelILi512EPKdPdS2_EvbbiT0_llT1_lllT2_li ; -- Begin function _ZL20rocblas_tpmvn_kernelILi512EPKdPdS2_EvbbiT0_llT1_lllT2_li
	.p2align	8
	.type	_ZL20rocblas_tpmvn_kernelILi512EPKdPdS2_EvbbiT0_llT1_lllT2_li,@function
_ZL20rocblas_tpmvn_kernelILi512EPKdPdS2_EvbbiT0_llT1_lllT2_li: ; @_ZL20rocblas_tpmvn_kernelILi512EPKdPdS2_EvbbiT0_llT1_lllT2_li
; %bb.0:
	s_load_b32 s33, s[0:1], 0x50
	s_bfe_u32 s2, ttmp6, 0x40014
	s_lshr_b32 s3, ttmp7, 16
	s_add_co_i32 s2, s2, 1
	s_bfe_u32 s5, ttmp6, 0x40008
	s_mul_i32 s4, s3, s2
	s_getreg_b32 s2, hwreg(HW_REG_IB_STS2, 6, 4)
	s_add_co_i32 s5, s5, s4
	s_cmp_eq_u32 s2, 0
	s_mov_b32 s21, 0
	s_cselect_b32 s20, s3, s5
	s_wait_kmcnt 0x0
	s_cmp_ge_u32 s20, s33
	s_cbranch_scc1 .LBB3_21
; %bb.1:
	s_clause 0x3
	s_load_b32 s3, s[0:1], 0x0
	s_load_b64 s[22:23], s[0:1], 0x0
	s_load_b512 s[4:19], s[0:1], 0x8
	s_load_b32 s28, s[0:1], 0x64
	s_wait_kmcnt 0x0
	s_bitcmp1_b32 s3, 0
	s_cselect_b32 s3, -1, 0
	s_delay_alu instid0(SALU_CYCLE_1)
	s_xor_b32 s38, s3, -1
	s_bitcmp1_b32 s22, 8
	s_cselect_b32 s3, -1, 0
	s_lshl_b64 s[24:25], s[6:7], 3
	s_bfe_u32 s6, ttmp6, 0x4000c
	s_lshl_b64 s[26:27], s[12:13], 3
	s_add_co_i32 s6, s6, 1
	s_and_b32 s12, ttmp6, 15
	s_mul_i32 s6, ttmp9, s6
	s_and_b32 s7, s28, 0xffff
	s_xor_b32 s22, s3, -1
	s_add_co_i32 s12, s12, s6
	s_cmp_eq_u32 s2, 0
	s_mov_b32 s6, s23
	s_cselect_b32 s2, ttmp9, s12
	s_load_b64 s[12:13], s[0:1], 0x48
	v_mad_u32 v0, s2, s7, v0
	s_ashr_i32 s7, s23, 31
	s_add_nc_u64 s[10:11], s[10:11], s[26:27]
	v_cndmask_b32_e64 v28, 0, 1, s22
	s_add_nc_u64 s[4:5], s[4:5], s[24:25]
	s_delay_alu instid0(VALU_DEP_2)
	v_dual_ashrrev_i32 v1, 31, v0 :: v_dual_add_nc_u32 v2, 1, v0
	v_add_nc_u32_e32 v6, 2, v0
	s_wait_xcnt 0x0
	v_cmp_gt_i32_e64 s0, s23, v0
	v_cmp_lt_i32_e64 s1, 0, v0
	v_add_nc_u64_e32 v[4:5], -1, v[0:1]
	v_ashrrev_i32_e32 v3, 31, v2
	v_mul_u64_e32 v[12:13], s[6:7], v[0:1]
	v_cmp_gt_i32_e64 s2, s23, v2
	v_ashrrev_i32_e32 v7, 31, v6
	s_delay_alu instid0(VALU_DEP_4) | instskip(SKIP_4) | instid1(VALU_DEP_4)
	v_mul_u64_e32 v[10:11], v[2:3], v[0:1]
	v_mul_u64_e32 v[8:9], v[4:5], v[0:1]
	;; [unrolled: 1-line block ×4, first 2 shown]
	s_lshl_b64 s[14:15], s[14:15], 3
	v_lshrrev_b64 v[10:11], 1, v[10:11]
	s_delay_alu instid0(VALU_DEP_4) | instskip(SKIP_3) | instid1(VALU_DEP_3)
	v_lshrrev_b64 v[16:17], 1, v[8:9]
	v_lshl_add_u64 v[8:9], v[0:1], 3, s[18:19]
	v_lshl_add_u64 v[14:15], v[14:15], 3, s[10:11]
	s_lshl_b64 s[18:19], s[16:17], 3
	v_sub_nc_u64_e32 v[12:13], v[12:13], v[16:17]
	v_mov_b32_e32 v17, 0
	s_branch .LBB3_5
.LBB3_2:                                ;   in Loop: Header=BB3_5 Depth=1
	s_or_b32 exec_lo, exec_lo, s3
	s_wait_loadcnt 0x0
	s_delay_alu instid0(VALU_DEP_1)
	v_mov_b64_e32 v[20:21], v[18:19]
.LBB3_3:                                ;   in Loop: Header=BB3_5 Depth=1
	s_wait_kmcnt 0x0
	s_mul_u64 s[24:25], s[12:13], s[20:21]
	s_wait_loadcnt 0x0
	s_wait_xcnt 0x0
	v_lshl_add_u64 v[18:19], s[24:25], 3, v[8:9]
	global_store_b64 v[18:19], v[20:21], off
.LBB3_4:                                ;   in Loop: Header=BB3_5 Depth=1
	s_wait_xcnt 0x0
	s_or_b32 exec_lo, exec_lo, s39
	s_add_co_i32 s20, s20, 0x10000
	s_delay_alu instid0(SALU_CYCLE_1)
	s_cmp_lt_u32 s20, s33
	s_cbranch_scc0 .LBB3_21
.LBB3_5:                                ; =>This Loop Header: Depth=1
                                        ;     Child Loop BB3_11 Depth 2
                                        ;     Child Loop BB3_19 Depth 2
	s_and_saveexec_b32 s39, s0
	s_cbranch_execz .LBB3_4
; %bb.6:                                ;   in Loop: Header=BB3_5 Depth=1
	s_mul_u64 s[24:25], s[16:17], s[20:21]
	v_cmp_ne_u32_e64 s3, 1, v28
	s_lshl_b64 s[24:25], s[24:25], 3
	s_and_b32 vcc_lo, exec_lo, s38
	s_add_nc_u64 s[24:25], s[10:11], s[24:25]
	s_mov_b32 s28, -1
	v_lshl_add_u64 v[18:19], v[4:5], 3, s[24:25]
	s_mul_u64 s[24:25], s[8:9], s[20:21]
                                        ; implicit-def: $vgpr20_vgpr21
	s_delay_alu instid0(SALU_CYCLE_1)
	s_lshl_b64 s[26:27], s[24:25], 3
	s_mul_u64 s[24:25], s[18:19], s[20:21]
	global_load_b64 v[18:19], v[18:19], off
	s_add_nc_u64 s[26:27], s[4:5], s[26:27]
	s_cbranch_vccz .LBB3_14
; %bb.7:                                ;   in Loop: Header=BB3_5 Depth=1
	s_wait_loadcnt 0x0
	v_mov_b64_e32 v[20:21], v[18:19]
	s_and_b32 vcc_lo, exec_lo, s3
	s_cbranch_vccnz .LBB3_9
; %bb.8:                                ;   in Loop: Header=BB3_5 Depth=1
	v_lshl_add_u64 v[20:21], v[12:13], 3, s[26:27]
	global_load_b64 v[20:21], v[20:21], off
	s_wait_loadcnt 0x0
	s_wait_xcnt 0x0
	v_mul_f64_e32 v[20:21], v[18:19], v[20:21]
.LBB3_9:                                ;   in Loop: Header=BB3_5 Depth=1
	s_wait_xcnt 0x0
	s_and_saveexec_b32 s3, s1
	s_cbranch_execz .LBB3_13
; %bb.10:                               ;   in Loop: Header=BB3_5 Depth=1
	v_mov_b32_e32 v16, v0
	s_add_nc_u64 s[28:29], s[10:11], s[24:25]
	s_mov_b64 s[30:31], 0
	s_mov_b32 s40, 0
	s_mov_b64 s[36:37], 0
	s_mov_b64 s[34:35], 0
.LBB3_11:                               ;   Parent Loop BB3_5 Depth=1
                                        ; =>  This Inner Loop Header: Depth=2
	s_delay_alu instid0(SALU_CYCLE_1) | instskip(SKIP_4) | instid1(VALU_DEP_1)
	v_add_nc_u64_e32 v[22:23], s[34:35], v[16:17]
	s_lshr_b64 s[42:43], s[30:31], 1
	v_add_nc_u32_e32 v16, -1, v16
	s_add_nc_u64 s[34:35], s[34:35], s[6:7]
	s_add_nc_u64 s[30:31], s[30:31], s[36:37]
	v_cmp_eq_u32_e32 vcc_lo, 0, v16
	s_delay_alu instid0(VALU_DEP_3) | instskip(SKIP_1) | instid1(SALU_CYCLE_1)
	v_sub_nc_u64_e64 v[22:23], v[22:23], s[42:43]
	s_add_nc_u64 s[42:43], s[36:37], 2
	s_mov_b64 s[36:37], s[42:43]
	s_or_b32 s40, vcc_lo, s40
	s_delay_alu instid0(VALU_DEP_1)
	v_lshl_add_u64 v[22:23], v[22:23], 3, s[26:27]
	global_load_b64 v[24:25], v17, s[28:29]
	global_load_b64 v[26:27], v[22:23], off
	s_wait_xcnt 0x1
	s_add_nc_u64 s[28:29], s[28:29], s[14:15]
	s_wait_loadcnt 0x0
	v_fmac_f64_e32 v[20:21], v[26:27], v[24:25]
	s_wait_xcnt 0x0
	s_and_not1_b32 exec_lo, exec_lo, s40
	s_cbranch_execnz .LBB3_11
; %bb.12:                               ;   in Loop: Header=BB3_5 Depth=1
	s_or_b32 exec_lo, exec_lo, s40
.LBB3_13:                               ;   in Loop: Header=BB3_5 Depth=1
	s_delay_alu instid0(SALU_CYCLE_1)
	s_or_b32 exec_lo, exec_lo, s3
	s_mov_b32 s28, 0
.LBB3_14:                               ;   in Loop: Header=BB3_5 Depth=1
	s_delay_alu instid0(SALU_CYCLE_1)
	s_and_b32 vcc_lo, exec_lo, s28
	s_cbranch_vccz .LBB3_3
; %bb.15:                               ;   in Loop: Header=BB3_5 Depth=1
	s_and_not1_b32 vcc_lo, exec_lo, s22
	s_cbranch_vccnz .LBB3_17
; %bb.16:                               ;   in Loop: Header=BB3_5 Depth=1
	v_lshl_add_u64 v[20:21], v[10:11], 3, s[26:27]
	s_delay_alu instid0(VALU_DEP_1)
	v_lshl_add_u64 v[20:21], v[0:1], 3, v[20:21]
	global_load_b64 v[20:21], v[20:21], off
	s_wait_loadcnt 0x0
	s_wait_xcnt 0x1
	v_mul_f64_e32 v[18:19], v[18:19], v[20:21]
.LBB3_17:                               ;   in Loop: Header=BB3_5 Depth=1
	s_wait_xcnt 0x0
	s_and_saveexec_b32 s3, s2
	s_cbranch_execz .LBB3_2
; %bb.18:                               ;   in Loop: Header=BB3_5 Depth=1
	v_add_nc_u64_e32 v[22:23], s[24:25], v[14:15]
	v_mov_b64_e32 v[26:27], v[2:3]
	v_mov_b64_e32 v[24:25], v[6:7]
	v_lshl_add_u64 v[20:21], v[0:1], 3, s[26:27]
	s_mov_b32 s24, 0
.LBB3_19:                               ;   Parent Loop BB3_5 Depth=1
                                        ; =>  This Inner Loop Header: Depth=2
	s_delay_alu instid0(VALU_DEP_2) | instskip(SKIP_2) | instid1(VALU_DEP_2)
	v_mul_u64_e32 v[30:31], v[24:25], v[26:27]
	v_add_nc_u64_e32 v[26:27], 1, v[26:27]
	v_add_nc_u64_e32 v[24:25], 1, v[24:25]
	v_cmp_le_i32_e32 vcc_lo, s23, v26
	s_or_b32 s24, vcc_lo, s24
	s_delay_alu instid0(VALU_DEP_4) | instskip(NEXT) | instid1(VALU_DEP_1)
	v_lshlrev_b64_e32 v[30:31], 2, v[30:31]
	v_and_b32_e32 v30, -8, v30
	s_delay_alu instid0(VALU_DEP_1)
	v_add_nc_u64_e32 v[30:31], v[20:21], v[30:31]
	global_load_b64 v[32:33], v[22:23], off
	global_load_b64 v[34:35], v[30:31], off
	s_wait_xcnt 0x1
	v_add_nc_u64_e32 v[22:23], s[14:15], v[22:23]
	s_wait_loadcnt 0x0
	v_fmac_f64_e32 v[18:19], v[34:35], v[32:33]
	s_wait_xcnt 0x0
	s_and_not1_b32 exec_lo, exec_lo, s24
	s_cbranch_execnz .LBB3_19
; %bb.20:                               ;   in Loop: Header=BB3_5 Depth=1
	s_or_b32 exec_lo, exec_lo, s24
	s_branch .LBB3_2
.LBB3_21:
	s_endpgm
	.section	.rodata,"a",@progbits
	.p2align	6, 0x0
	.amdhsa_kernel _ZL20rocblas_tpmvn_kernelILi512EPKdPdS2_EvbbiT0_llT1_lllT2_li
		.amdhsa_group_segment_fixed_size 0
		.amdhsa_private_segment_fixed_size 0
		.amdhsa_kernarg_size 344
		.amdhsa_user_sgpr_count 2
		.amdhsa_user_sgpr_dispatch_ptr 0
		.amdhsa_user_sgpr_queue_ptr 0
		.amdhsa_user_sgpr_kernarg_segment_ptr 1
		.amdhsa_user_sgpr_dispatch_id 0
		.amdhsa_user_sgpr_kernarg_preload_length 0
		.amdhsa_user_sgpr_kernarg_preload_offset 0
		.amdhsa_user_sgpr_private_segment_size 0
		.amdhsa_wavefront_size32 1
		.amdhsa_uses_dynamic_stack 0
		.amdhsa_enable_private_segment 0
		.amdhsa_system_sgpr_workgroup_id_x 1
		.amdhsa_system_sgpr_workgroup_id_y 0
		.amdhsa_system_sgpr_workgroup_id_z 1
		.amdhsa_system_sgpr_workgroup_info 0
		.amdhsa_system_vgpr_workitem_id 0
		.amdhsa_next_free_vgpr 36
		.amdhsa_next_free_sgpr 44
		.amdhsa_named_barrier_count 0
		.amdhsa_reserve_vcc 1
		.amdhsa_float_round_mode_32 0
		.amdhsa_float_round_mode_16_64 0
		.amdhsa_float_denorm_mode_32 3
		.amdhsa_float_denorm_mode_16_64 3
		.amdhsa_fp16_overflow 0
		.amdhsa_memory_ordered 1
		.amdhsa_forward_progress 1
		.amdhsa_inst_pref_size 8
		.amdhsa_round_robin_scheduling 0
		.amdhsa_exception_fp_ieee_invalid_op 0
		.amdhsa_exception_fp_denorm_src 0
		.amdhsa_exception_fp_ieee_div_zero 0
		.amdhsa_exception_fp_ieee_overflow 0
		.amdhsa_exception_fp_ieee_underflow 0
		.amdhsa_exception_fp_ieee_inexact 0
		.amdhsa_exception_int_div_zero 0
	.end_amdhsa_kernel
	.section	.text._ZL20rocblas_tpmvn_kernelILi512EPKdPdS2_EvbbiT0_llT1_lllT2_li,"axG",@progbits,_ZL20rocblas_tpmvn_kernelILi512EPKdPdS2_EvbbiT0_llT1_lllT2_li,comdat
.Lfunc_end3:
	.size	_ZL20rocblas_tpmvn_kernelILi512EPKdPdS2_EvbbiT0_llT1_lllT2_li, .Lfunc_end3-_ZL20rocblas_tpmvn_kernelILi512EPKdPdS2_EvbbiT0_llT1_lllT2_li
                                        ; -- End function
	.set _ZL20rocblas_tpmvn_kernelILi512EPKdPdS2_EvbbiT0_llT1_lllT2_li.num_vgpr, 36
	.set _ZL20rocblas_tpmvn_kernelILi512EPKdPdS2_EvbbiT0_llT1_lllT2_li.num_agpr, 0
	.set _ZL20rocblas_tpmvn_kernelILi512EPKdPdS2_EvbbiT0_llT1_lllT2_li.numbered_sgpr, 44
	.set _ZL20rocblas_tpmvn_kernelILi512EPKdPdS2_EvbbiT0_llT1_lllT2_li.num_named_barrier, 0
	.set _ZL20rocblas_tpmvn_kernelILi512EPKdPdS2_EvbbiT0_llT1_lllT2_li.private_seg_size, 0
	.set _ZL20rocblas_tpmvn_kernelILi512EPKdPdS2_EvbbiT0_llT1_lllT2_li.uses_vcc, 1
	.set _ZL20rocblas_tpmvn_kernelILi512EPKdPdS2_EvbbiT0_llT1_lllT2_li.uses_flat_scratch, 0
	.set _ZL20rocblas_tpmvn_kernelILi512EPKdPdS2_EvbbiT0_llT1_lllT2_li.has_dyn_sized_stack, 0
	.set _ZL20rocblas_tpmvn_kernelILi512EPKdPdS2_EvbbiT0_llT1_lllT2_li.has_recursion, 0
	.set _ZL20rocblas_tpmvn_kernelILi512EPKdPdS2_EvbbiT0_llT1_lllT2_li.has_indirect_call, 0
	.section	.AMDGPU.csdata,"",@progbits
; Kernel info:
; codeLenInByte = 948
; TotalNumSgprs: 46
; NumVgprs: 36
; ScratchSize: 0
; MemoryBound: 0
; FloatMode: 240
; IeeeMode: 1
; LDSByteSize: 0 bytes/workgroup (compile time only)
; SGPRBlocks: 0
; VGPRBlocks: 2
; NumSGPRsForWavesPerEU: 46
; NumVGPRsForWavesPerEU: 36
; NamedBarCnt: 0
; Occupancy: 16
; WaveLimiterHint : 0
; COMPUTE_PGM_RSRC2:SCRATCH_EN: 0
; COMPUTE_PGM_RSRC2:USER_SGPR: 2
; COMPUTE_PGM_RSRC2:TRAP_HANDLER: 0
; COMPUTE_PGM_RSRC2:TGID_X_EN: 1
; COMPUTE_PGM_RSRC2:TGID_Y_EN: 0
; COMPUTE_PGM_RSRC2:TGID_Z_EN: 1
; COMPUTE_PGM_RSRC2:TIDIG_COMP_CNT: 0
	.section	.text._ZL20rocblas_tpmvt_kernelILi512EPKdPdS2_EvbbiT0_llT1_lllT2_li,"axG",@progbits,_ZL20rocblas_tpmvt_kernelILi512EPKdPdS2_EvbbiT0_llT1_lllT2_li,comdat
	.globl	_ZL20rocblas_tpmvt_kernelILi512EPKdPdS2_EvbbiT0_llT1_lllT2_li ; -- Begin function _ZL20rocblas_tpmvt_kernelILi512EPKdPdS2_EvbbiT0_llT1_lllT2_li
	.p2align	8
	.type	_ZL20rocblas_tpmvt_kernelILi512EPKdPdS2_EvbbiT0_llT1_lllT2_li,@function
_ZL20rocblas_tpmvt_kernelILi512EPKdPdS2_EvbbiT0_llT1_lllT2_li: ; @_ZL20rocblas_tpmvt_kernelILi512EPKdPdS2_EvbbiT0_llT1_lllT2_li
; %bb.0:
	s_load_b32 s30, s[0:1], 0x50
	s_bfe_u32 s2, ttmp6, 0x40014
	s_lshr_b32 s3, ttmp7, 16
	s_add_co_i32 s2, s2, 1
	s_bfe_u32 s5, ttmp6, 0x40008
	s_mul_i32 s4, s3, s2
	s_getreg_b32 s2, hwreg(HW_REG_IB_STS2, 6, 4)
	s_add_co_i32 s5, s5, s4
	s_cmp_eq_u32 s2, 0
	s_mov_b32 s21, 0
	s_cselect_b32 s20, s3, s5
	s_wait_kmcnt 0x0
	s_cmp_ge_u32 s20, s30
	s_cbranch_scc1 .LBB4_21
; %bb.1:
	s_clause 0x3
	s_load_b32 s3, s[0:1], 0x0
	s_load_b64 s[22:23], s[0:1], 0x0
	s_load_b512 s[4:19], s[0:1], 0x8
	s_load_b32 s28, s[0:1], 0x64
	s_wait_kmcnt 0x0
	s_bitcmp1_b32 s3, 0
	s_cselect_b32 s3, -1, 0
	s_delay_alu instid0(SALU_CYCLE_1)
	s_xor_b32 s31, s3, -1
	s_bitcmp1_b32 s22, 8
	s_cselect_b32 s3, -1, 0
	s_lshl_b64 s[24:25], s[6:7], 3
	s_bfe_u32 s6, ttmp6, 0x4000c
	s_lshl_b64 s[26:27], s[12:13], 3
	s_add_co_i32 s6, s6, 1
	s_and_b32 s12, ttmp6, 15
	s_mul_i32 s6, ttmp9, s6
	s_and_b32 s7, s28, 0xffff
	s_xor_b32 s22, s3, -1
	s_add_co_i32 s12, s12, s6
	s_cmp_eq_u32 s2, 0
	s_add_nc_u64 s[10:11], s[10:11], s[26:27]
	s_cselect_b32 s2, ttmp9, s12
	s_ashr_i32 s3, s23, 31
	v_mad_u32 v0, s2, s7, v0
	s_mov_b32 s2, s23
	s_add_nc_u64 s[12:13], s[4:5], s[24:25]
	s_lshl_b64 s[6:7], s[2:3], 3
	s_delay_alu instid0(SALU_CYCLE_1) | instskip(NEXT) | instid1(VALU_DEP_1)
	s_add_nc_u64 s[6:7], s[6:7], -8
	v_dual_ashrrev_i32 v1, 31, v0 :: v_dual_add_nc_u32 v2, 1, v0
	v_mad_nc_u64_u32 v[10:11], s6, v0, s[24:25]
	s_delay_alu instid0(VALU_DEP_2) | instskip(NEXT) | instid1(VALU_DEP_3)
	v_add_nc_u64_e32 v[4:5], -1, v[0:1]
	v_ashrrev_i32_e32 v3, 31, v2
	v_mul_u64_e32 v[16:17], s[2:3], v[0:1]
	v_mul_u64_e32 v[6:7], s[14:15], v[0:1]
	v_cmp_gt_i32_e64 s2, s23, v2
	s_delay_alu instid0(VALU_DEP_4) | instskip(SKIP_4) | instid1(VALU_DEP_2)
	v_mul_u64_e32 v[14:15], v[2:3], v[0:1]
	v_mul_u64_e32 v[8:9], v[4:5], v[0:1]
	v_dual_mov_b32 v5, 0 :: v_dual_mov_b32 v4, v2
	v_mul_u64_e32 v[18:19], s[14:15], v[2:3]
	s_lshl_b64 s[14:15], s[14:15], 3
	v_mul_u64_e32 v[12:13], v[4:5], v[0:1]
	v_mad_u32 v4, s7, v0, v11
	s_delay_alu instid0(VALU_DEP_1) | instskip(SKIP_4) | instid1(VALU_DEP_3)
	v_mad_u32 v11, s6, v1, v4
	s_load_b64 s[6:7], s[0:1], 0x48
	s_wait_xcnt 0x0
	v_cmp_gt_i32_e64 s0, s23, v0
	v_cmp_lt_i32_e64 s1, 0, v0
	v_lshl_add_u64 v[10:11], v[2:3], 3, v[10:11]
	v_cndmask_b32_e64 v3, 0, 1, s22
	v_lshrrev_b64 v[20:21], 1, v[8:9]
	v_lshl_add_u64 v[18:19], v[18:19], 3, s[10:11]
	s_delay_alu instid0(VALU_DEP_2) | instskip(SKIP_2) | instid1(VALU_DEP_3)
	v_lshlrev_b64_e32 v[8:9], 3, v[20:21]
	v_lshlrev_b64_e32 v[22:23], 2, v[12:13]
	v_sub_nc_u64_e32 v[12:13], v[16:17], v[20:21]
	v_sub_nc_u64_e32 v[24:25], v[10:11], v[8:9]
	s_delay_alu instid0(VALU_DEP_3) | instskip(SKIP_3) | instid1(VALU_DEP_3)
	v_and_b32_e32 v22, -8, v22
	v_lshrrev_b64 v[10:11], 1, v[14:15]
	v_lshl_add_u64 v[8:9], v[0:1], 3, s[18:19]
	s_lshl_b64 s[18:19], s[8:9], 3
	v_add_nc_u64_e32 v[16:17], s[12:13], v[22:23]
	v_add_nc_u64_e32 v[14:15], s[4:5], v[24:25]
	s_lshl_b64 s[4:5], s[16:17], 3
	s_branch .LBB4_5
.LBB4_2:                                ;   in Loop: Header=BB4_5 Depth=1
	s_or_b32 exec_lo, exec_lo, s3
	s_wait_loadcnt 0x0
	s_delay_alu instid0(VALU_DEP_1)
	v_mov_b64_e32 v[22:23], v[20:21]
.LBB4_3:                                ;   in Loop: Header=BB4_5 Depth=1
	s_wait_kmcnt 0x0
	s_mul_u64 s[24:25], s[6:7], s[20:21]
	s_wait_loadcnt 0x0
	s_wait_xcnt 0x0
	v_lshl_add_u64 v[20:21], s[24:25], 3, v[8:9]
	global_store_b64 v[20:21], v[22:23], off
.LBB4_4:                                ;   in Loop: Header=BB4_5 Depth=1
	s_wait_xcnt 0x0
	s_or_b32 exec_lo, exec_lo, s33
	s_add_co_i32 s20, s20, 0x10000
	s_delay_alu instid0(SALU_CYCLE_1)
	s_cmp_lt_u32 s20, s30
	s_cbranch_scc0 .LBB4_21
.LBB4_5:                                ; =>This Loop Header: Depth=1
                                        ;     Child Loop BB4_11 Depth 2
                                        ;     Child Loop BB4_19 Depth 2
	s_and_saveexec_b32 s33, s0
	s_cbranch_execz .LBB4_4
; %bb.6:                                ;   in Loop: Header=BB4_5 Depth=1
	s_mul_u64 s[24:25], s[16:17], s[20:21]
	v_cmp_ne_u32_e64 s3, 1, v3
	s_lshl_b64 s[24:25], s[24:25], 3
	s_mul_u64 s[26:27], s[18:19], s[20:21]
	s_add_nc_u64 s[24:25], s[10:11], s[24:25]
	s_and_b32 vcc_lo, exec_lo, s31
	v_lshl_add_u64 v[20:21], v[6:7], 3, s[24:25]
	s_mul_u64 s[24:25], s[8:9], s[20:21]
	s_mov_b32 s34, -1
	s_lshl_b64 s[28:29], s[24:25], 3
	s_mul_u64 s[24:25], s[4:5], s[20:21]
	global_load_b64 v[20:21], v[20:21], off
	s_add_nc_u64 s[28:29], s[12:13], s[28:29]
                                        ; implicit-def: $vgpr22_vgpr23
	s_cbranch_vccz .LBB4_14
; %bb.7:                                ;   in Loop: Header=BB4_5 Depth=1
	s_wait_loadcnt 0x0
	v_mov_b64_e32 v[22:23], v[20:21]
	s_and_b32 vcc_lo, exec_lo, s3
	s_cbranch_vccnz .LBB4_9
; %bb.8:                                ;   in Loop: Header=BB4_5 Depth=1
	v_lshl_add_u64 v[22:23], v[12:13], 3, s[28:29]
	global_load_b64 v[22:23], v[22:23], off
	s_wait_loadcnt 0x0
	s_wait_xcnt 0x0
	v_mul_f64_e32 v[22:23], v[20:21], v[22:23]
.LBB4_9:                                ;   in Loop: Header=BB4_5 Depth=1
	s_wait_xcnt 0x0
	s_and_saveexec_b32 s3, s2
	s_cbranch_execz .LBB4_13
; %bb.10:                               ;   in Loop: Header=BB4_5 Depth=1
	v_add_nc_u64_e32 v[24:25], s[24:25], v[18:19]
	v_add_nc_u64_e32 v[26:27], s[26:27], v[14:15]
	v_mov_b32_e32 v4, v2
	s_mov_b32 s34, 0
.LBB4_11:                               ;   Parent Loop BB4_5 Depth=1
                                        ; =>  This Inner Loop Header: Depth=2
	global_load_b64 v[28:29], v[26:27], off
	global_load_b64 v[30:31], v[24:25], off
	v_add_nc_u32_e32 v4, 1, v4
	s_wait_xcnt 0x0
	v_add_nc_u64_e32 v[24:25], s[14:15], v[24:25]
	v_add_nc_u64_e32 v[26:27], 8, v[26:27]
	s_delay_alu instid0(VALU_DEP_3)
	v_cmp_le_i32_e32 vcc_lo, s23, v4
	s_or_b32 s34, vcc_lo, s34
	s_wait_loadcnt 0x0
	v_fmac_f64_e32 v[22:23], v[28:29], v[30:31]
	s_and_not1_b32 exec_lo, exec_lo, s34
	s_cbranch_execnz .LBB4_11
; %bb.12:                               ;   in Loop: Header=BB4_5 Depth=1
	s_or_b32 exec_lo, exec_lo, s34
.LBB4_13:                               ;   in Loop: Header=BB4_5 Depth=1
	s_delay_alu instid0(SALU_CYCLE_1)
	s_or_b32 exec_lo, exec_lo, s3
	s_mov_b32 s34, 0
.LBB4_14:                               ;   in Loop: Header=BB4_5 Depth=1
	s_delay_alu instid0(SALU_CYCLE_1)
	s_and_b32 vcc_lo, exec_lo, s34
	s_cbranch_vccz .LBB4_3
; %bb.15:                               ;   in Loop: Header=BB4_5 Depth=1
	s_and_not1_b32 vcc_lo, exec_lo, s22
	s_cbranch_vccnz .LBB4_17
; %bb.16:                               ;   in Loop: Header=BB4_5 Depth=1
	v_lshl_add_u64 v[22:23], v[10:11], 3, s[28:29]
	s_delay_alu instid0(VALU_DEP_1)
	v_lshl_add_u64 v[22:23], v[0:1], 3, v[22:23]
	global_load_b64 v[22:23], v[22:23], off
	s_wait_loadcnt 0x0
	s_wait_xcnt 0x1
	v_mul_f64_e32 v[20:21], v[20:21], v[22:23]
.LBB4_17:                               ;   in Loop: Header=BB4_5 Depth=1
	s_wait_xcnt 0x0
	s_and_saveexec_b32 s3, s1
	s_cbranch_execz .LBB4_2
; %bb.18:                               ;   in Loop: Header=BB4_5 Depth=1
	v_add_nc_u64_e32 v[22:23], s[26:27], v[16:17]
	v_mov_b32_e32 v4, v0
	s_add_nc_u64 s[24:25], s[10:11], s[24:25]
	s_mov_b32 s26, 0
.LBB4_19:                               ;   Parent Loop BB4_5 Depth=1
                                        ; =>  This Inner Loop Header: Depth=2
	global_load_b64 v[24:25], v[22:23], off
	global_load_b64 v[26:27], v5, s[24:25]
	v_add_nc_u32_e32 v4, -1, v4
	s_wait_xcnt 0x1
	v_add_nc_u64_e32 v[22:23], 8, v[22:23]
	s_wait_xcnt 0x0
	s_add_nc_u64 s[24:25], s[24:25], s[14:15]
	v_cmp_eq_u32_e32 vcc_lo, 0, v4
	s_or_b32 s26, vcc_lo, s26
	s_wait_loadcnt 0x0
	v_fmac_f64_e32 v[20:21], v[24:25], v[26:27]
	s_and_not1_b32 exec_lo, exec_lo, s26
	s_cbranch_execnz .LBB4_19
; %bb.20:                               ;   in Loop: Header=BB4_5 Depth=1
	s_or_b32 exec_lo, exec_lo, s26
	s_branch .LBB4_2
.LBB4_21:
	s_endpgm
	.section	.rodata,"a",@progbits
	.p2align	6, 0x0
	.amdhsa_kernel _ZL20rocblas_tpmvt_kernelILi512EPKdPdS2_EvbbiT0_llT1_lllT2_li
		.amdhsa_group_segment_fixed_size 0
		.amdhsa_private_segment_fixed_size 0
		.amdhsa_kernarg_size 344
		.amdhsa_user_sgpr_count 2
		.amdhsa_user_sgpr_dispatch_ptr 0
		.amdhsa_user_sgpr_queue_ptr 0
		.amdhsa_user_sgpr_kernarg_segment_ptr 1
		.amdhsa_user_sgpr_dispatch_id 0
		.amdhsa_user_sgpr_kernarg_preload_length 0
		.amdhsa_user_sgpr_kernarg_preload_offset 0
		.amdhsa_user_sgpr_private_segment_size 0
		.amdhsa_wavefront_size32 1
		.amdhsa_uses_dynamic_stack 0
		.amdhsa_enable_private_segment 0
		.amdhsa_system_sgpr_workgroup_id_x 1
		.amdhsa_system_sgpr_workgroup_id_y 0
		.amdhsa_system_sgpr_workgroup_id_z 1
		.amdhsa_system_sgpr_workgroup_info 0
		.amdhsa_system_vgpr_workitem_id 0
		.amdhsa_next_free_vgpr 32
		.amdhsa_next_free_sgpr 35
		.amdhsa_named_barrier_count 0
		.amdhsa_reserve_vcc 1
		.amdhsa_float_round_mode_32 0
		.amdhsa_float_round_mode_16_64 0
		.amdhsa_float_denorm_mode_32 3
		.amdhsa_float_denorm_mode_16_64 3
		.amdhsa_fp16_overflow 0
		.amdhsa_memory_ordered 1
		.amdhsa_forward_progress 1
		.amdhsa_inst_pref_size 8
		.amdhsa_round_robin_scheduling 0
		.amdhsa_exception_fp_ieee_invalid_op 0
		.amdhsa_exception_fp_denorm_src 0
		.amdhsa_exception_fp_ieee_div_zero 0
		.amdhsa_exception_fp_ieee_overflow 0
		.amdhsa_exception_fp_ieee_underflow 0
		.amdhsa_exception_fp_ieee_inexact 0
		.amdhsa_exception_int_div_zero 0
	.end_amdhsa_kernel
	.section	.text._ZL20rocblas_tpmvt_kernelILi512EPKdPdS2_EvbbiT0_llT1_lllT2_li,"axG",@progbits,_ZL20rocblas_tpmvt_kernelILi512EPKdPdS2_EvbbiT0_llT1_lllT2_li,comdat
.Lfunc_end4:
	.size	_ZL20rocblas_tpmvt_kernelILi512EPKdPdS2_EvbbiT0_llT1_lllT2_li, .Lfunc_end4-_ZL20rocblas_tpmvt_kernelILi512EPKdPdS2_EvbbiT0_llT1_lllT2_li
                                        ; -- End function
	.set _ZL20rocblas_tpmvt_kernelILi512EPKdPdS2_EvbbiT0_llT1_lllT2_li.num_vgpr, 32
	.set _ZL20rocblas_tpmvt_kernelILi512EPKdPdS2_EvbbiT0_llT1_lllT2_li.num_agpr, 0
	.set _ZL20rocblas_tpmvt_kernelILi512EPKdPdS2_EvbbiT0_llT1_lllT2_li.numbered_sgpr, 35
	.set _ZL20rocblas_tpmvt_kernelILi512EPKdPdS2_EvbbiT0_llT1_lllT2_li.num_named_barrier, 0
	.set _ZL20rocblas_tpmvt_kernelILi512EPKdPdS2_EvbbiT0_llT1_lllT2_li.private_seg_size, 0
	.set _ZL20rocblas_tpmvt_kernelILi512EPKdPdS2_EvbbiT0_llT1_lllT2_li.uses_vcc, 1
	.set _ZL20rocblas_tpmvt_kernelILi512EPKdPdS2_EvbbiT0_llT1_lllT2_li.uses_flat_scratch, 0
	.set _ZL20rocblas_tpmvt_kernelILi512EPKdPdS2_EvbbiT0_llT1_lllT2_li.has_dyn_sized_stack, 0
	.set _ZL20rocblas_tpmvt_kernelILi512EPKdPdS2_EvbbiT0_llT1_lllT2_li.has_recursion, 0
	.set _ZL20rocblas_tpmvt_kernelILi512EPKdPdS2_EvbbiT0_llT1_lllT2_li.has_indirect_call, 0
	.section	.AMDGPU.csdata,"",@progbits
; Kernel info:
; codeLenInByte = 936
; TotalNumSgprs: 37
; NumVgprs: 32
; ScratchSize: 0
; MemoryBound: 0
; FloatMode: 240
; IeeeMode: 1
; LDSByteSize: 0 bytes/workgroup (compile time only)
; SGPRBlocks: 0
; VGPRBlocks: 1
; NumSGPRsForWavesPerEU: 37
; NumVGPRsForWavesPerEU: 32
; NamedBarCnt: 0
; Occupancy: 16
; WaveLimiterHint : 0
; COMPUTE_PGM_RSRC2:SCRATCH_EN: 0
; COMPUTE_PGM_RSRC2:USER_SGPR: 2
; COMPUTE_PGM_RSRC2:TRAP_HANDLER: 0
; COMPUTE_PGM_RSRC2:TGID_X_EN: 1
; COMPUTE_PGM_RSRC2:TGID_Y_EN: 0
; COMPUTE_PGM_RSRC2:TGID_Z_EN: 1
; COMPUTE_PGM_RSRC2:TIDIG_COMP_CNT: 0
	.section	.text._ZL20rocblas_tpmvc_kernelILi512EPKdPdS2_EvbbiT0_llT1_lllT2_li,"axG",@progbits,_ZL20rocblas_tpmvc_kernelILi512EPKdPdS2_EvbbiT0_llT1_lllT2_li,comdat
	.globl	_ZL20rocblas_tpmvc_kernelILi512EPKdPdS2_EvbbiT0_llT1_lllT2_li ; -- Begin function _ZL20rocblas_tpmvc_kernelILi512EPKdPdS2_EvbbiT0_llT1_lllT2_li
	.p2align	8
	.type	_ZL20rocblas_tpmvc_kernelILi512EPKdPdS2_EvbbiT0_llT1_lllT2_li,@function
_ZL20rocblas_tpmvc_kernelILi512EPKdPdS2_EvbbiT0_llT1_lllT2_li: ; @_ZL20rocblas_tpmvc_kernelILi512EPKdPdS2_EvbbiT0_llT1_lllT2_li
; %bb.0:
	s_load_b32 s30, s[0:1], 0x50
	s_bfe_u32 s2, ttmp6, 0x40014
	s_lshr_b32 s3, ttmp7, 16
	s_add_co_i32 s2, s2, 1
	s_bfe_u32 s5, ttmp6, 0x40008
	s_mul_i32 s4, s3, s2
	s_getreg_b32 s2, hwreg(HW_REG_IB_STS2, 6, 4)
	s_add_co_i32 s5, s5, s4
	s_cmp_eq_u32 s2, 0
	s_mov_b32 s21, 0
	s_cselect_b32 s20, s3, s5
	s_wait_kmcnt 0x0
	s_cmp_ge_u32 s20, s30
	s_cbranch_scc1 .LBB5_21
; %bb.1:
	s_clause 0x3
	s_load_b32 s3, s[0:1], 0x0
	s_load_b64 s[22:23], s[0:1], 0x0
	s_load_b512 s[4:19], s[0:1], 0x8
	s_load_b32 s28, s[0:1], 0x64
	s_wait_kmcnt 0x0
	s_bitcmp1_b32 s3, 0
	s_cselect_b32 s3, -1, 0
	s_delay_alu instid0(SALU_CYCLE_1)
	s_xor_b32 s31, s3, -1
	s_bitcmp1_b32 s22, 8
	s_cselect_b32 s3, -1, 0
	s_lshl_b64 s[24:25], s[6:7], 3
	s_bfe_u32 s6, ttmp6, 0x4000c
	s_lshl_b64 s[26:27], s[12:13], 3
	s_add_co_i32 s6, s6, 1
	s_and_b32 s12, ttmp6, 15
	s_mul_i32 s6, ttmp9, s6
	s_and_b32 s7, s28, 0xffff
	s_xor_b32 s22, s3, -1
	s_add_co_i32 s12, s12, s6
	s_cmp_eq_u32 s2, 0
	s_add_nc_u64 s[10:11], s[10:11], s[26:27]
	s_cselect_b32 s2, ttmp9, s12
	s_ashr_i32 s3, s23, 31
	v_mad_u32 v0, s2, s7, v0
	s_mov_b32 s2, s23
	s_add_nc_u64 s[12:13], s[4:5], s[24:25]
	s_lshl_b64 s[6:7], s[2:3], 3
	s_delay_alu instid0(SALU_CYCLE_1) | instskip(NEXT) | instid1(VALU_DEP_1)
	s_add_nc_u64 s[6:7], s[6:7], -8
	v_dual_ashrrev_i32 v1, 31, v0 :: v_dual_add_nc_u32 v2, 1, v0
	v_mad_nc_u64_u32 v[10:11], s6, v0, s[24:25]
	s_delay_alu instid0(VALU_DEP_2) | instskip(NEXT) | instid1(VALU_DEP_3)
	v_add_nc_u64_e32 v[4:5], -1, v[0:1]
	v_ashrrev_i32_e32 v3, 31, v2
	v_mul_u64_e32 v[16:17], s[2:3], v[0:1]
	v_mul_u64_e32 v[6:7], s[14:15], v[0:1]
	v_cmp_gt_i32_e64 s2, s23, v2
	s_delay_alu instid0(VALU_DEP_4) | instskip(SKIP_4) | instid1(VALU_DEP_2)
	v_mul_u64_e32 v[14:15], v[2:3], v[0:1]
	v_mul_u64_e32 v[8:9], v[4:5], v[0:1]
	v_dual_mov_b32 v5, 0 :: v_dual_mov_b32 v4, v2
	v_mul_u64_e32 v[18:19], s[14:15], v[2:3]
	s_lshl_b64 s[14:15], s[14:15], 3
	v_mul_u64_e32 v[12:13], v[4:5], v[0:1]
	v_mad_u32 v4, s7, v0, v11
	s_delay_alu instid0(VALU_DEP_1) | instskip(SKIP_4) | instid1(VALU_DEP_3)
	v_mad_u32 v11, s6, v1, v4
	s_load_b64 s[6:7], s[0:1], 0x48
	s_wait_xcnt 0x0
	v_cmp_gt_i32_e64 s0, s23, v0
	v_cmp_lt_i32_e64 s1, 0, v0
	v_lshl_add_u64 v[10:11], v[2:3], 3, v[10:11]
	v_cndmask_b32_e64 v3, 0, 1, s22
	v_lshrrev_b64 v[20:21], 1, v[8:9]
	v_lshl_add_u64 v[18:19], v[18:19], 3, s[10:11]
	s_delay_alu instid0(VALU_DEP_2) | instskip(SKIP_2) | instid1(VALU_DEP_3)
	v_lshlrev_b64_e32 v[8:9], 3, v[20:21]
	v_lshlrev_b64_e32 v[22:23], 2, v[12:13]
	v_sub_nc_u64_e32 v[12:13], v[16:17], v[20:21]
	v_sub_nc_u64_e32 v[24:25], v[10:11], v[8:9]
	s_delay_alu instid0(VALU_DEP_3) | instskip(SKIP_3) | instid1(VALU_DEP_3)
	v_and_b32_e32 v22, -8, v22
	v_lshrrev_b64 v[10:11], 1, v[14:15]
	v_lshl_add_u64 v[8:9], v[0:1], 3, s[18:19]
	s_lshl_b64 s[18:19], s[8:9], 3
	v_add_nc_u64_e32 v[16:17], s[12:13], v[22:23]
	v_add_nc_u64_e32 v[14:15], s[4:5], v[24:25]
	s_lshl_b64 s[4:5], s[16:17], 3
	s_branch .LBB5_5
.LBB5_2:                                ;   in Loop: Header=BB5_5 Depth=1
	s_or_b32 exec_lo, exec_lo, s3
	s_wait_loadcnt 0x0
	s_delay_alu instid0(VALU_DEP_1)
	v_mov_b64_e32 v[22:23], v[20:21]
.LBB5_3:                                ;   in Loop: Header=BB5_5 Depth=1
	s_wait_kmcnt 0x0
	s_mul_u64 s[24:25], s[6:7], s[20:21]
	s_wait_loadcnt 0x0
	s_wait_xcnt 0x0
	v_lshl_add_u64 v[20:21], s[24:25], 3, v[8:9]
	global_store_b64 v[20:21], v[22:23], off
.LBB5_4:                                ;   in Loop: Header=BB5_5 Depth=1
	s_wait_xcnt 0x0
	s_or_b32 exec_lo, exec_lo, s33
	s_add_co_i32 s20, s20, 0x10000
	s_delay_alu instid0(SALU_CYCLE_1)
	s_cmp_lt_u32 s20, s30
	s_cbranch_scc0 .LBB5_21
.LBB5_5:                                ; =>This Loop Header: Depth=1
                                        ;     Child Loop BB5_11 Depth 2
                                        ;     Child Loop BB5_19 Depth 2
	s_and_saveexec_b32 s33, s0
	s_cbranch_execz .LBB5_4
; %bb.6:                                ;   in Loop: Header=BB5_5 Depth=1
	s_mul_u64 s[24:25], s[16:17], s[20:21]
	v_cmp_ne_u32_e64 s3, 1, v3
	s_lshl_b64 s[24:25], s[24:25], 3
	s_mul_u64 s[26:27], s[18:19], s[20:21]
	s_add_nc_u64 s[24:25], s[10:11], s[24:25]
	s_and_b32 vcc_lo, exec_lo, s31
	v_lshl_add_u64 v[20:21], v[6:7], 3, s[24:25]
	s_mul_u64 s[24:25], s[8:9], s[20:21]
	s_mov_b32 s34, -1
	s_lshl_b64 s[28:29], s[24:25], 3
	s_mul_u64 s[24:25], s[4:5], s[20:21]
	global_load_b64 v[20:21], v[20:21], off
	s_add_nc_u64 s[28:29], s[12:13], s[28:29]
                                        ; implicit-def: $vgpr22_vgpr23
	s_cbranch_vccz .LBB5_14
; %bb.7:                                ;   in Loop: Header=BB5_5 Depth=1
	s_wait_loadcnt 0x0
	v_mov_b64_e32 v[22:23], v[20:21]
	s_and_b32 vcc_lo, exec_lo, s3
	s_cbranch_vccnz .LBB5_9
; %bb.8:                                ;   in Loop: Header=BB5_5 Depth=1
	v_lshl_add_u64 v[22:23], v[12:13], 3, s[28:29]
	global_load_b64 v[22:23], v[22:23], off
	s_wait_loadcnt 0x0
	s_wait_xcnt 0x0
	v_mul_f64_e32 v[22:23], v[20:21], v[22:23]
.LBB5_9:                                ;   in Loop: Header=BB5_5 Depth=1
	s_wait_xcnt 0x0
	s_and_saveexec_b32 s3, s2
	s_cbranch_execz .LBB5_13
; %bb.10:                               ;   in Loop: Header=BB5_5 Depth=1
	v_add_nc_u64_e32 v[24:25], s[24:25], v[18:19]
	v_add_nc_u64_e32 v[26:27], s[26:27], v[14:15]
	v_mov_b32_e32 v4, v2
	s_mov_b32 s34, 0
.LBB5_11:                               ;   Parent Loop BB5_5 Depth=1
                                        ; =>  This Inner Loop Header: Depth=2
	global_load_b64 v[28:29], v[26:27], off
	global_load_b64 v[30:31], v[24:25], off
	v_add_nc_u32_e32 v4, 1, v4
	s_wait_xcnt 0x0
	v_add_nc_u64_e32 v[24:25], s[14:15], v[24:25]
	v_add_nc_u64_e32 v[26:27], 8, v[26:27]
	s_delay_alu instid0(VALU_DEP_3)
	v_cmp_le_i32_e32 vcc_lo, s23, v4
	s_or_b32 s34, vcc_lo, s34
	s_wait_loadcnt 0x0
	v_fmac_f64_e32 v[22:23], v[28:29], v[30:31]
	s_and_not1_b32 exec_lo, exec_lo, s34
	s_cbranch_execnz .LBB5_11
; %bb.12:                               ;   in Loop: Header=BB5_5 Depth=1
	s_or_b32 exec_lo, exec_lo, s34
.LBB5_13:                               ;   in Loop: Header=BB5_5 Depth=1
	s_delay_alu instid0(SALU_CYCLE_1)
	s_or_b32 exec_lo, exec_lo, s3
	s_mov_b32 s34, 0
.LBB5_14:                               ;   in Loop: Header=BB5_5 Depth=1
	s_delay_alu instid0(SALU_CYCLE_1)
	s_and_b32 vcc_lo, exec_lo, s34
	s_cbranch_vccz .LBB5_3
; %bb.15:                               ;   in Loop: Header=BB5_5 Depth=1
	s_and_not1_b32 vcc_lo, exec_lo, s22
	s_cbranch_vccnz .LBB5_17
; %bb.16:                               ;   in Loop: Header=BB5_5 Depth=1
	v_lshl_add_u64 v[22:23], v[10:11], 3, s[28:29]
	s_delay_alu instid0(VALU_DEP_1)
	v_lshl_add_u64 v[22:23], v[0:1], 3, v[22:23]
	global_load_b64 v[22:23], v[22:23], off
	s_wait_loadcnt 0x0
	s_wait_xcnt 0x1
	v_mul_f64_e32 v[20:21], v[20:21], v[22:23]
.LBB5_17:                               ;   in Loop: Header=BB5_5 Depth=1
	s_wait_xcnt 0x0
	s_and_saveexec_b32 s3, s1
	s_cbranch_execz .LBB5_2
; %bb.18:                               ;   in Loop: Header=BB5_5 Depth=1
	v_add_nc_u64_e32 v[22:23], s[26:27], v[16:17]
	v_mov_b32_e32 v4, v0
	s_add_nc_u64 s[24:25], s[10:11], s[24:25]
	s_mov_b32 s26, 0
.LBB5_19:                               ;   Parent Loop BB5_5 Depth=1
                                        ; =>  This Inner Loop Header: Depth=2
	global_load_b64 v[24:25], v[22:23], off
	global_load_b64 v[26:27], v5, s[24:25]
	v_add_nc_u32_e32 v4, -1, v4
	s_wait_xcnt 0x1
	v_add_nc_u64_e32 v[22:23], 8, v[22:23]
	s_wait_xcnt 0x0
	s_add_nc_u64 s[24:25], s[24:25], s[14:15]
	v_cmp_eq_u32_e32 vcc_lo, 0, v4
	s_or_b32 s26, vcc_lo, s26
	s_wait_loadcnt 0x0
	v_fmac_f64_e32 v[20:21], v[24:25], v[26:27]
	s_and_not1_b32 exec_lo, exec_lo, s26
	s_cbranch_execnz .LBB5_19
; %bb.20:                               ;   in Loop: Header=BB5_5 Depth=1
	s_or_b32 exec_lo, exec_lo, s26
	s_branch .LBB5_2
.LBB5_21:
	s_endpgm
	.section	.rodata,"a",@progbits
	.p2align	6, 0x0
	.amdhsa_kernel _ZL20rocblas_tpmvc_kernelILi512EPKdPdS2_EvbbiT0_llT1_lllT2_li
		.amdhsa_group_segment_fixed_size 0
		.amdhsa_private_segment_fixed_size 0
		.amdhsa_kernarg_size 344
		.amdhsa_user_sgpr_count 2
		.amdhsa_user_sgpr_dispatch_ptr 0
		.amdhsa_user_sgpr_queue_ptr 0
		.amdhsa_user_sgpr_kernarg_segment_ptr 1
		.amdhsa_user_sgpr_dispatch_id 0
		.amdhsa_user_sgpr_kernarg_preload_length 0
		.amdhsa_user_sgpr_kernarg_preload_offset 0
		.amdhsa_user_sgpr_private_segment_size 0
		.amdhsa_wavefront_size32 1
		.amdhsa_uses_dynamic_stack 0
		.amdhsa_enable_private_segment 0
		.amdhsa_system_sgpr_workgroup_id_x 1
		.amdhsa_system_sgpr_workgroup_id_y 0
		.amdhsa_system_sgpr_workgroup_id_z 1
		.amdhsa_system_sgpr_workgroup_info 0
		.amdhsa_system_vgpr_workitem_id 0
		.amdhsa_next_free_vgpr 32
		.amdhsa_next_free_sgpr 35
		.amdhsa_named_barrier_count 0
		.amdhsa_reserve_vcc 1
		.amdhsa_float_round_mode_32 0
		.amdhsa_float_round_mode_16_64 0
		.amdhsa_float_denorm_mode_32 3
		.amdhsa_float_denorm_mode_16_64 3
		.amdhsa_fp16_overflow 0
		.amdhsa_memory_ordered 1
		.amdhsa_forward_progress 1
		.amdhsa_inst_pref_size 8
		.amdhsa_round_robin_scheduling 0
		.amdhsa_exception_fp_ieee_invalid_op 0
		.amdhsa_exception_fp_denorm_src 0
		.amdhsa_exception_fp_ieee_div_zero 0
		.amdhsa_exception_fp_ieee_overflow 0
		.amdhsa_exception_fp_ieee_underflow 0
		.amdhsa_exception_fp_ieee_inexact 0
		.amdhsa_exception_int_div_zero 0
	.end_amdhsa_kernel
	.section	.text._ZL20rocblas_tpmvc_kernelILi512EPKdPdS2_EvbbiT0_llT1_lllT2_li,"axG",@progbits,_ZL20rocblas_tpmvc_kernelILi512EPKdPdS2_EvbbiT0_llT1_lllT2_li,comdat
.Lfunc_end5:
	.size	_ZL20rocblas_tpmvc_kernelILi512EPKdPdS2_EvbbiT0_llT1_lllT2_li, .Lfunc_end5-_ZL20rocblas_tpmvc_kernelILi512EPKdPdS2_EvbbiT0_llT1_lllT2_li
                                        ; -- End function
	.set _ZL20rocblas_tpmvc_kernelILi512EPKdPdS2_EvbbiT0_llT1_lllT2_li.num_vgpr, 32
	.set _ZL20rocblas_tpmvc_kernelILi512EPKdPdS2_EvbbiT0_llT1_lllT2_li.num_agpr, 0
	.set _ZL20rocblas_tpmvc_kernelILi512EPKdPdS2_EvbbiT0_llT1_lllT2_li.numbered_sgpr, 35
	.set _ZL20rocblas_tpmvc_kernelILi512EPKdPdS2_EvbbiT0_llT1_lllT2_li.num_named_barrier, 0
	.set _ZL20rocblas_tpmvc_kernelILi512EPKdPdS2_EvbbiT0_llT1_lllT2_li.private_seg_size, 0
	.set _ZL20rocblas_tpmvc_kernelILi512EPKdPdS2_EvbbiT0_llT1_lllT2_li.uses_vcc, 1
	.set _ZL20rocblas_tpmvc_kernelILi512EPKdPdS2_EvbbiT0_llT1_lllT2_li.uses_flat_scratch, 0
	.set _ZL20rocblas_tpmvc_kernelILi512EPKdPdS2_EvbbiT0_llT1_lllT2_li.has_dyn_sized_stack, 0
	.set _ZL20rocblas_tpmvc_kernelILi512EPKdPdS2_EvbbiT0_llT1_lllT2_li.has_recursion, 0
	.set _ZL20rocblas_tpmvc_kernelILi512EPKdPdS2_EvbbiT0_llT1_lllT2_li.has_indirect_call, 0
	.section	.AMDGPU.csdata,"",@progbits
; Kernel info:
; codeLenInByte = 936
; TotalNumSgprs: 37
; NumVgprs: 32
; ScratchSize: 0
; MemoryBound: 0
; FloatMode: 240
; IeeeMode: 1
; LDSByteSize: 0 bytes/workgroup (compile time only)
; SGPRBlocks: 0
; VGPRBlocks: 1
; NumSGPRsForWavesPerEU: 37
; NumVGPRsForWavesPerEU: 32
; NamedBarCnt: 0
; Occupancy: 16
; WaveLimiterHint : 0
; COMPUTE_PGM_RSRC2:SCRATCH_EN: 0
; COMPUTE_PGM_RSRC2:USER_SGPR: 2
; COMPUTE_PGM_RSRC2:TRAP_HANDLER: 0
; COMPUTE_PGM_RSRC2:TGID_X_EN: 1
; COMPUTE_PGM_RSRC2:TGID_Y_EN: 0
; COMPUTE_PGM_RSRC2:TGID_Z_EN: 1
; COMPUTE_PGM_RSRC2:TIDIG_COMP_CNT: 0
	.section	.text._ZL20rocblas_tpmvn_kernelILi512EPK19rocblas_complex_numIfEPS1_S4_EvbbiT0_llT1_lllT2_li,"axG",@progbits,_ZL20rocblas_tpmvn_kernelILi512EPK19rocblas_complex_numIfEPS1_S4_EvbbiT0_llT1_lllT2_li,comdat
	.globl	_ZL20rocblas_tpmvn_kernelILi512EPK19rocblas_complex_numIfEPS1_S4_EvbbiT0_llT1_lllT2_li ; -- Begin function _ZL20rocblas_tpmvn_kernelILi512EPK19rocblas_complex_numIfEPS1_S4_EvbbiT0_llT1_lllT2_li
	.p2align	8
	.type	_ZL20rocblas_tpmvn_kernelILi512EPK19rocblas_complex_numIfEPS1_S4_EvbbiT0_llT1_lllT2_li,@function
_ZL20rocblas_tpmvn_kernelILi512EPK19rocblas_complex_numIfEPS1_S4_EvbbiT0_llT1_lllT2_li: ; @_ZL20rocblas_tpmvn_kernelILi512EPK19rocblas_complex_numIfEPS1_S4_EvbbiT0_llT1_lllT2_li
; %bb.0:
	s_load_b32 s33, s[0:1], 0x50
	s_bfe_u32 s2, ttmp6, 0x40014
	s_lshr_b32 s3, ttmp7, 16
	s_add_co_i32 s2, s2, 1
	s_bfe_u32 s5, ttmp6, 0x40008
	s_mul_i32 s4, s3, s2
	s_getreg_b32 s2, hwreg(HW_REG_IB_STS2, 6, 4)
	s_add_co_i32 s5, s5, s4
	s_cmp_eq_u32 s2, 0
	s_mov_b32 s21, 0
	s_cselect_b32 s20, s3, s5
	s_wait_kmcnt 0x0
	s_cmp_ge_u32 s20, s33
	s_cbranch_scc1 .LBB6_21
; %bb.1:
	s_clause 0x3
	s_load_b32 s3, s[0:1], 0x0
	s_load_b64 s[22:23], s[0:1], 0x0
	s_load_b512 s[4:19], s[0:1], 0x8
	s_load_b32 s28, s[0:1], 0x64
	s_wait_kmcnt 0x0
	s_bitcmp1_b32 s3, 0
	s_cselect_b32 s3, -1, 0
	s_delay_alu instid0(SALU_CYCLE_1)
	s_xor_b32 s38, s3, -1
	s_bitcmp1_b32 s22, 8
	s_cselect_b32 s3, -1, 0
	s_lshl_b64 s[24:25], s[6:7], 3
	s_bfe_u32 s6, ttmp6, 0x4000c
	s_lshl_b64 s[26:27], s[12:13], 3
	s_add_co_i32 s6, s6, 1
	s_and_b32 s12, ttmp6, 15
	s_mul_i32 s6, ttmp9, s6
	s_and_b32 s7, s28, 0xffff
	s_xor_b32 s22, s3, -1
	s_add_co_i32 s12, s12, s6
	s_cmp_eq_u32 s2, 0
	s_mov_b32 s6, s23
	s_cselect_b32 s2, ttmp9, s12
	s_load_b64 s[12:13], s[0:1], 0x48
	v_mad_u32 v0, s2, s7, v0
	s_ashr_i32 s7, s23, 31
	s_add_nc_u64 s[10:11], s[10:11], s[26:27]
	v_cndmask_b32_e64 v28, 0, 1, s22
	s_add_nc_u64 s[4:5], s[4:5], s[24:25]
	s_delay_alu instid0(VALU_DEP_2)
	v_dual_ashrrev_i32 v1, 31, v0 :: v_dual_add_nc_u32 v2, 1, v0
	v_add_nc_u32_e32 v6, 2, v0
	s_wait_xcnt 0x0
	v_cmp_gt_i32_e64 s0, s23, v0
	v_cmp_lt_i32_e64 s1, 0, v0
	v_add_nc_u64_e32 v[4:5], -1, v[0:1]
	v_ashrrev_i32_e32 v3, 31, v2
	v_mul_u64_e32 v[12:13], s[6:7], v[0:1]
	v_cmp_gt_i32_e64 s2, s23, v2
	v_ashrrev_i32_e32 v7, 31, v6
	s_delay_alu instid0(VALU_DEP_4) | instskip(SKIP_4) | instid1(VALU_DEP_4)
	v_mul_u64_e32 v[10:11], v[2:3], v[0:1]
	v_mul_u64_e32 v[8:9], v[4:5], v[0:1]
	;; [unrolled: 1-line block ×4, first 2 shown]
	s_lshl_b64 s[14:15], s[14:15], 3
	v_lshrrev_b64 v[10:11], 1, v[10:11]
	s_delay_alu instid0(VALU_DEP_4) | instskip(SKIP_3) | instid1(VALU_DEP_3)
	v_lshrrev_b64 v[16:17], 1, v[8:9]
	v_lshl_add_u64 v[8:9], v[0:1], 3, s[18:19]
	v_lshl_add_u64 v[14:15], v[14:15], 3, s[10:11]
	s_lshl_b64 s[18:19], s[16:17], 3
	v_sub_nc_u64_e32 v[12:13], v[12:13], v[16:17]
	v_mov_b32_e32 v17, 0
	s_branch .LBB6_5
.LBB6_2:                                ;   in Loop: Header=BB6_5 Depth=1
	s_or_b32 exec_lo, exec_lo, s3
	s_wait_loadcnt 0x0
	v_mov_b64_e32 v[20:21], v[18:19]
.LBB6_3:                                ;   in Loop: Header=BB6_5 Depth=1
	s_wait_kmcnt 0x0
	s_mul_u64 s[24:25], s[12:13], s[20:21]
	s_wait_loadcnt 0x0
	s_wait_xcnt 0x0
	v_lshl_add_u64 v[18:19], s[24:25], 3, v[8:9]
	global_store_b64 v[18:19], v[20:21], off
.LBB6_4:                                ;   in Loop: Header=BB6_5 Depth=1
	s_wait_xcnt 0x0
	s_or_b32 exec_lo, exec_lo, s39
	s_add_co_i32 s20, s20, 0x10000
	s_delay_alu instid0(SALU_CYCLE_1)
	s_cmp_lt_u32 s20, s33
	s_cbranch_scc0 .LBB6_21
.LBB6_5:                                ; =>This Loop Header: Depth=1
                                        ;     Child Loop BB6_11 Depth 2
                                        ;     Child Loop BB6_19 Depth 2
	s_and_saveexec_b32 s39, s0
	s_cbranch_execz .LBB6_4
; %bb.6:                                ;   in Loop: Header=BB6_5 Depth=1
	s_mul_u64 s[24:25], s[16:17], s[20:21]
	v_cmp_ne_u32_e64 s3, 1, v28
	s_lshl_b64 s[24:25], s[24:25], 3
	s_and_b32 vcc_lo, exec_lo, s38
	s_add_nc_u64 s[24:25], s[10:11], s[24:25]
	s_mov_b32 s28, -1
	v_lshl_add_u64 v[18:19], v[4:5], 3, s[24:25]
	s_mul_u64 s[24:25], s[8:9], s[20:21]
                                        ; implicit-def: $vgpr20_vgpr21
	s_delay_alu instid0(SALU_CYCLE_1)
	s_lshl_b64 s[26:27], s[24:25], 3
	s_mul_u64 s[24:25], s[18:19], s[20:21]
	global_load_b64 v[18:19], v[18:19], off
	s_add_nc_u64 s[26:27], s[4:5], s[26:27]
	s_cbranch_vccz .LBB6_14
; %bb.7:                                ;   in Loop: Header=BB6_5 Depth=1
	s_wait_loadcnt 0x0
	v_mov_b64_e32 v[20:21], v[18:19]
	s_and_b32 vcc_lo, exec_lo, s3
	s_cbranch_vccnz .LBB6_9
; %bb.8:                                ;   in Loop: Header=BB6_5 Depth=1
	v_lshl_add_u64 v[20:21], v[12:13], 3, s[26:27]
	global_load_b64 v[20:21], v[20:21], off
	s_wait_loadcnt 0x0
	v_pk_mul_f32 v[22:23], v[18:19], v[20:21] op_sel:[1,1] op_sel_hi:[0,1]
	s_delay_alu instid0(VALU_DEP_1) | instskip(SKIP_2) | instid1(VALU_DEP_2)
	v_pk_fma_f32 v[24:25], v[18:19], v[20:21], v[22:23] op_sel_hi:[1,0,1]
	s_wait_xcnt 0x0
	v_pk_fma_f32 v[20:21], v[18:19], v[20:21], v[22:23] neg_lo:[0,0,1] neg_hi:[0,0,1]
	v_mov_b32_e32 v21, v25
.LBB6_9:                                ;   in Loop: Header=BB6_5 Depth=1
	s_wait_xcnt 0x0
	s_and_saveexec_b32 s3, s1
	s_cbranch_execz .LBB6_13
; %bb.10:                               ;   in Loop: Header=BB6_5 Depth=1
	v_mov_b32_e32 v16, v0
	s_add_nc_u64 s[28:29], s[10:11], s[24:25]
	s_mov_b64 s[30:31], 0
	s_mov_b32 s40, 0
	s_mov_b64 s[36:37], 0
	s_mov_b64 s[34:35], 0
.LBB6_11:                               ;   Parent Loop BB6_5 Depth=1
                                        ; =>  This Inner Loop Header: Depth=2
	s_delay_alu instid0(SALU_CYCLE_1) | instskip(SKIP_3) | instid1(VALU_DEP_1)
	v_add_nc_u64_e32 v[22:23], s[34:35], v[16:17]
	s_lshr_b64 s[42:43], s[30:31], 1
	s_add_nc_u64 s[34:35], s[34:35], s[6:7]
	s_add_nc_u64 s[30:31], s[30:31], s[36:37]
	v_sub_nc_u64_e64 v[22:23], v[22:23], s[42:43]
	s_add_nc_u64 s[42:43], s[36:37], 2
	s_delay_alu instid0(SALU_CYCLE_1) | instskip(NEXT) | instid1(VALU_DEP_1)
	s_mov_b64 s[36:37], s[42:43]
	v_lshl_add_u64 v[22:23], v[22:23], 3, s[26:27]
	global_load_b64 v[24:25], v17, s[28:29]
	global_load_b64 v[26:27], v[22:23], off
	s_wait_xcnt 0x1
	s_add_nc_u64 s[28:29], s[28:29], s[14:15]
	s_wait_loadcnt 0x0
	s_wait_xcnt 0x0
	v_pk_mul_f32 v[22:23], v[24:25], v[26:27] op_sel:[1,1] op_sel_hi:[0,1]
	s_delay_alu instid0(VALU_DEP_1) | instskip(SKIP_2) | instid1(VALU_DEP_3)
	v_pk_fma_f32 v[30:31], v[24:25], v[26:27], v[22:23] op_sel_hi:[1,0,1]
	v_add_nc_u32_e32 v16, -1, v16
	v_pk_fma_f32 v[22:23], v[24:25], v[26:27], v[22:23] neg_lo:[0,0,1] neg_hi:[0,0,1]
	v_mov_b32_e32 v23, v31
	s_delay_alu instid0(VALU_DEP_3) | instskip(NEXT) | instid1(VALU_DEP_2)
	v_cmp_eq_u32_e32 vcc_lo, 0, v16
	v_pk_add_f32 v[20:21], v[20:21], v[22:23]
	s_or_b32 s40, vcc_lo, s40
	s_delay_alu instid0(SALU_CYCLE_1)
	s_and_not1_b32 exec_lo, exec_lo, s40
	s_cbranch_execnz .LBB6_11
; %bb.12:                               ;   in Loop: Header=BB6_5 Depth=1
	s_or_b32 exec_lo, exec_lo, s40
.LBB6_13:                               ;   in Loop: Header=BB6_5 Depth=1
	s_delay_alu instid0(SALU_CYCLE_1)
	s_or_b32 exec_lo, exec_lo, s3
	s_mov_b32 s28, 0
.LBB6_14:                               ;   in Loop: Header=BB6_5 Depth=1
	s_delay_alu instid0(SALU_CYCLE_1)
	s_and_b32 vcc_lo, exec_lo, s28
	s_cbranch_vccz .LBB6_3
; %bb.15:                               ;   in Loop: Header=BB6_5 Depth=1
	s_and_not1_b32 vcc_lo, exec_lo, s22
	s_cbranch_vccnz .LBB6_17
; %bb.16:                               ;   in Loop: Header=BB6_5 Depth=1
	v_lshl_add_u64 v[20:21], v[10:11], 3, s[26:27]
	s_delay_alu instid0(VALU_DEP_1) | instskip(SKIP_3) | instid1(VALU_DEP_1)
	v_lshl_add_u64 v[20:21], v[0:1], 3, v[20:21]
	global_load_b64 v[20:21], v[20:21], off
	s_wait_loadcnt 0x0
	v_pk_mul_f32 v[22:23], v[18:19], v[20:21] op_sel:[1,1] op_sel_hi:[0,1]
	v_pk_fma_f32 v[24:25], v[18:19], v[20:21], v[22:23] op_sel_hi:[1,0,1]
	s_wait_xcnt 0x1
	v_pk_fma_f32 v[18:19], v[18:19], v[20:21], v[22:23] neg_lo:[0,0,1] neg_hi:[0,0,1]
	s_delay_alu instid0(VALU_DEP_2)
	v_mov_b32_e32 v19, v25
.LBB6_17:                               ;   in Loop: Header=BB6_5 Depth=1
	s_wait_xcnt 0x0
	s_and_saveexec_b32 s3, s2
	s_cbranch_execz .LBB6_2
; %bb.18:                               ;   in Loop: Header=BB6_5 Depth=1
	v_add_nc_u64_e32 v[22:23], s[24:25], v[14:15]
	v_mov_b64_e32 v[26:27], v[2:3]
	v_mov_b64_e32 v[24:25], v[6:7]
	v_lshl_add_u64 v[20:21], v[0:1], 3, s[26:27]
	s_mov_b32 s24, 0
.LBB6_19:                               ;   Parent Loop BB6_5 Depth=1
                                        ; =>  This Inner Loop Header: Depth=2
	s_delay_alu instid0(VALU_DEP_2) | instskip(SKIP_2) | instid1(VALU_DEP_2)
	v_mul_u64_e32 v[30:31], v[24:25], v[26:27]
	v_add_nc_u64_e32 v[26:27], 1, v[26:27]
	v_add_nc_u64_e32 v[24:25], 1, v[24:25]
	v_cmp_le_i32_e32 vcc_lo, s23, v26
	s_or_b32 s24, vcc_lo, s24
	s_delay_alu instid0(VALU_DEP_4) | instskip(NEXT) | instid1(VALU_DEP_1)
	v_lshlrev_b64_e32 v[30:31], 2, v[30:31]
	v_and_b32_e32 v30, -8, v30
	s_delay_alu instid0(VALU_DEP_1)
	v_add_nc_u64_e32 v[30:31], v[20:21], v[30:31]
	global_load_b64 v[32:33], v[22:23], off
	global_load_b64 v[34:35], v[30:31], off
	s_wait_xcnt 0x1
	v_add_nc_u64_e32 v[22:23], s[14:15], v[22:23]
	s_wait_loadcnt 0x0
	s_wait_xcnt 0x0
	v_pk_mul_f32 v[30:31], v[32:33], v[34:35] op_sel:[1,1] op_sel_hi:[0,1]
	s_delay_alu instid0(VALU_DEP_1) | instskip(SKIP_1) | instid1(VALU_DEP_2)
	v_pk_fma_f32 v[36:37], v[32:33], v[34:35], v[30:31] op_sel_hi:[1,0,1]
	v_pk_fma_f32 v[30:31], v[32:33], v[34:35], v[30:31] neg_lo:[0,0,1] neg_hi:[0,0,1]
	v_mov_b32_e32 v31, v37
	s_delay_alu instid0(VALU_DEP_1)
	v_pk_add_f32 v[18:19], v[18:19], v[30:31]
	s_and_not1_b32 exec_lo, exec_lo, s24
	s_cbranch_execnz .LBB6_19
; %bb.20:                               ;   in Loop: Header=BB6_5 Depth=1
	s_or_b32 exec_lo, exec_lo, s24
	s_branch .LBB6_2
.LBB6_21:
	s_endpgm
	.section	.rodata,"a",@progbits
	.p2align	6, 0x0
	.amdhsa_kernel _ZL20rocblas_tpmvn_kernelILi512EPK19rocblas_complex_numIfEPS1_S4_EvbbiT0_llT1_lllT2_li
		.amdhsa_group_segment_fixed_size 0
		.amdhsa_private_segment_fixed_size 0
		.amdhsa_kernarg_size 344
		.amdhsa_user_sgpr_count 2
		.amdhsa_user_sgpr_dispatch_ptr 0
		.amdhsa_user_sgpr_queue_ptr 0
		.amdhsa_user_sgpr_kernarg_segment_ptr 1
		.amdhsa_user_sgpr_dispatch_id 0
		.amdhsa_user_sgpr_kernarg_preload_length 0
		.amdhsa_user_sgpr_kernarg_preload_offset 0
		.amdhsa_user_sgpr_private_segment_size 0
		.amdhsa_wavefront_size32 1
		.amdhsa_uses_dynamic_stack 0
		.amdhsa_enable_private_segment 0
		.amdhsa_system_sgpr_workgroup_id_x 1
		.amdhsa_system_sgpr_workgroup_id_y 0
		.amdhsa_system_sgpr_workgroup_id_z 1
		.amdhsa_system_sgpr_workgroup_info 0
		.amdhsa_system_vgpr_workitem_id 0
		.amdhsa_next_free_vgpr 38
		.amdhsa_next_free_sgpr 44
		.amdhsa_named_barrier_count 0
		.amdhsa_reserve_vcc 1
		.amdhsa_float_round_mode_32 0
		.amdhsa_float_round_mode_16_64 0
		.amdhsa_float_denorm_mode_32 3
		.amdhsa_float_denorm_mode_16_64 3
		.amdhsa_fp16_overflow 0
		.amdhsa_memory_ordered 1
		.amdhsa_forward_progress 1
		.amdhsa_inst_pref_size 9
		.amdhsa_round_robin_scheduling 0
		.amdhsa_exception_fp_ieee_invalid_op 0
		.amdhsa_exception_fp_denorm_src 0
		.amdhsa_exception_fp_ieee_div_zero 0
		.amdhsa_exception_fp_ieee_overflow 0
		.amdhsa_exception_fp_ieee_underflow 0
		.amdhsa_exception_fp_ieee_inexact 0
		.amdhsa_exception_int_div_zero 0
	.end_amdhsa_kernel
	.section	.text._ZL20rocblas_tpmvn_kernelILi512EPK19rocblas_complex_numIfEPS1_S4_EvbbiT0_llT1_lllT2_li,"axG",@progbits,_ZL20rocblas_tpmvn_kernelILi512EPK19rocblas_complex_numIfEPS1_S4_EvbbiT0_llT1_lllT2_li,comdat
.Lfunc_end6:
	.size	_ZL20rocblas_tpmvn_kernelILi512EPK19rocblas_complex_numIfEPS1_S4_EvbbiT0_llT1_lllT2_li, .Lfunc_end6-_ZL20rocblas_tpmvn_kernelILi512EPK19rocblas_complex_numIfEPS1_S4_EvbbiT0_llT1_lllT2_li
                                        ; -- End function
	.set _ZL20rocblas_tpmvn_kernelILi512EPK19rocblas_complex_numIfEPS1_S4_EvbbiT0_llT1_lllT2_li.num_vgpr, 38
	.set _ZL20rocblas_tpmvn_kernelILi512EPK19rocblas_complex_numIfEPS1_S4_EvbbiT0_llT1_lllT2_li.num_agpr, 0
	.set _ZL20rocblas_tpmvn_kernelILi512EPK19rocblas_complex_numIfEPS1_S4_EvbbiT0_llT1_lllT2_li.numbered_sgpr, 44
	.set _ZL20rocblas_tpmvn_kernelILi512EPK19rocblas_complex_numIfEPS1_S4_EvbbiT0_llT1_lllT2_li.num_named_barrier, 0
	.set _ZL20rocblas_tpmvn_kernelILi512EPK19rocblas_complex_numIfEPS1_S4_EvbbiT0_llT1_lllT2_li.private_seg_size, 0
	.set _ZL20rocblas_tpmvn_kernelILi512EPK19rocblas_complex_numIfEPS1_S4_EvbbiT0_llT1_lllT2_li.uses_vcc, 1
	.set _ZL20rocblas_tpmvn_kernelILi512EPK19rocblas_complex_numIfEPS1_S4_EvbbiT0_llT1_lllT2_li.uses_flat_scratch, 0
	.set _ZL20rocblas_tpmvn_kernelILi512EPK19rocblas_complex_numIfEPS1_S4_EvbbiT0_llT1_lllT2_li.has_dyn_sized_stack, 0
	.set _ZL20rocblas_tpmvn_kernelILi512EPK19rocblas_complex_numIfEPS1_S4_EvbbiT0_llT1_lllT2_li.has_recursion, 0
	.set _ZL20rocblas_tpmvn_kernelILi512EPK19rocblas_complex_numIfEPS1_S4_EvbbiT0_llT1_lllT2_li.has_indirect_call, 0
	.section	.AMDGPU.csdata,"",@progbits
; Kernel info:
; codeLenInByte = 1080
; TotalNumSgprs: 46
; NumVgprs: 38
; ScratchSize: 0
; MemoryBound: 0
; FloatMode: 240
; IeeeMode: 1
; LDSByteSize: 0 bytes/workgroup (compile time only)
; SGPRBlocks: 0
; VGPRBlocks: 2
; NumSGPRsForWavesPerEU: 46
; NumVGPRsForWavesPerEU: 38
; NamedBarCnt: 0
; Occupancy: 16
; WaveLimiterHint : 0
; COMPUTE_PGM_RSRC2:SCRATCH_EN: 0
; COMPUTE_PGM_RSRC2:USER_SGPR: 2
; COMPUTE_PGM_RSRC2:TRAP_HANDLER: 0
; COMPUTE_PGM_RSRC2:TGID_X_EN: 1
; COMPUTE_PGM_RSRC2:TGID_Y_EN: 0
; COMPUTE_PGM_RSRC2:TGID_Z_EN: 1
; COMPUTE_PGM_RSRC2:TIDIG_COMP_CNT: 0
	.section	.text._ZL20rocblas_tpmvt_kernelILi512EPK19rocblas_complex_numIfEPS1_S4_EvbbiT0_llT1_lllT2_li,"axG",@progbits,_ZL20rocblas_tpmvt_kernelILi512EPK19rocblas_complex_numIfEPS1_S4_EvbbiT0_llT1_lllT2_li,comdat
	.globl	_ZL20rocblas_tpmvt_kernelILi512EPK19rocblas_complex_numIfEPS1_S4_EvbbiT0_llT1_lllT2_li ; -- Begin function _ZL20rocblas_tpmvt_kernelILi512EPK19rocblas_complex_numIfEPS1_S4_EvbbiT0_llT1_lllT2_li
	.p2align	8
	.type	_ZL20rocblas_tpmvt_kernelILi512EPK19rocblas_complex_numIfEPS1_S4_EvbbiT0_llT1_lllT2_li,@function
_ZL20rocblas_tpmvt_kernelILi512EPK19rocblas_complex_numIfEPS1_S4_EvbbiT0_llT1_lllT2_li: ; @_ZL20rocblas_tpmvt_kernelILi512EPK19rocblas_complex_numIfEPS1_S4_EvbbiT0_llT1_lllT2_li
; %bb.0:
	s_load_b32 s30, s[0:1], 0x50
	s_bfe_u32 s2, ttmp6, 0x40014
	s_lshr_b32 s3, ttmp7, 16
	s_add_co_i32 s2, s2, 1
	s_bfe_u32 s5, ttmp6, 0x40008
	s_mul_i32 s4, s3, s2
	s_getreg_b32 s2, hwreg(HW_REG_IB_STS2, 6, 4)
	s_add_co_i32 s5, s5, s4
	s_cmp_eq_u32 s2, 0
	s_mov_b32 s21, 0
	s_cselect_b32 s20, s3, s5
	s_wait_kmcnt 0x0
	s_cmp_ge_u32 s20, s30
	s_cbranch_scc1 .LBB7_21
; %bb.1:
	s_clause 0x3
	s_load_b32 s3, s[0:1], 0x0
	s_load_b64 s[22:23], s[0:1], 0x0
	s_load_b512 s[4:19], s[0:1], 0x8
	s_load_b32 s28, s[0:1], 0x64
	s_wait_kmcnt 0x0
	s_bitcmp1_b32 s3, 0
	s_cselect_b32 s3, -1, 0
	s_delay_alu instid0(SALU_CYCLE_1)
	s_xor_b32 s31, s3, -1
	s_bitcmp1_b32 s22, 8
	s_cselect_b32 s3, -1, 0
	s_lshl_b64 s[24:25], s[6:7], 3
	s_bfe_u32 s6, ttmp6, 0x4000c
	s_lshl_b64 s[26:27], s[12:13], 3
	s_add_co_i32 s6, s6, 1
	s_and_b32 s12, ttmp6, 15
	s_mul_i32 s6, ttmp9, s6
	s_and_b32 s7, s28, 0xffff
	s_xor_b32 s22, s3, -1
	s_add_co_i32 s12, s12, s6
	s_cmp_eq_u32 s2, 0
	s_add_nc_u64 s[10:11], s[10:11], s[26:27]
	s_cselect_b32 s2, ttmp9, s12
	s_ashr_i32 s3, s23, 31
	v_mad_u32 v0, s2, s7, v0
	s_mov_b32 s2, s23
	s_add_nc_u64 s[12:13], s[4:5], s[24:25]
	s_lshl_b64 s[6:7], s[2:3], 3
	s_delay_alu instid0(SALU_CYCLE_1) | instskip(NEXT) | instid1(VALU_DEP_1)
	s_add_nc_u64 s[6:7], s[6:7], -8
	v_dual_ashrrev_i32 v1, 31, v0 :: v_dual_add_nc_u32 v2, 1, v0
	v_mad_nc_u64_u32 v[10:11], s6, v0, s[24:25]
	s_delay_alu instid0(VALU_DEP_2) | instskip(NEXT) | instid1(VALU_DEP_3)
	v_add_nc_u64_e32 v[4:5], -1, v[0:1]
	v_ashrrev_i32_e32 v3, 31, v2
	v_mul_u64_e32 v[16:17], s[2:3], v[0:1]
	v_mul_u64_e32 v[6:7], s[14:15], v[0:1]
	v_cmp_gt_i32_e64 s2, s23, v2
	s_delay_alu instid0(VALU_DEP_4) | instskip(SKIP_4) | instid1(VALU_DEP_2)
	v_mul_u64_e32 v[14:15], v[2:3], v[0:1]
	v_mul_u64_e32 v[8:9], v[4:5], v[0:1]
	v_dual_mov_b32 v5, 0 :: v_dual_mov_b32 v4, v2
	v_mul_u64_e32 v[18:19], s[14:15], v[2:3]
	s_lshl_b64 s[14:15], s[14:15], 3
	v_mul_u64_e32 v[12:13], v[4:5], v[0:1]
	v_mad_u32 v4, s7, v0, v11
	s_delay_alu instid0(VALU_DEP_1) | instskip(SKIP_4) | instid1(VALU_DEP_3)
	v_mad_u32 v11, s6, v1, v4
	s_load_b64 s[6:7], s[0:1], 0x48
	s_wait_xcnt 0x0
	v_cmp_gt_i32_e64 s0, s23, v0
	v_cmp_lt_i32_e64 s1, 0, v0
	v_lshl_add_u64 v[10:11], v[2:3], 3, v[10:11]
	v_cndmask_b32_e64 v3, 0, 1, s22
	v_lshrrev_b64 v[20:21], 1, v[8:9]
	v_lshl_add_u64 v[18:19], v[18:19], 3, s[10:11]
	s_delay_alu instid0(VALU_DEP_2) | instskip(SKIP_2) | instid1(VALU_DEP_3)
	v_lshlrev_b64_e32 v[8:9], 3, v[20:21]
	v_lshlrev_b64_e32 v[22:23], 2, v[12:13]
	v_sub_nc_u64_e32 v[12:13], v[16:17], v[20:21]
	v_sub_nc_u64_e32 v[24:25], v[10:11], v[8:9]
	s_delay_alu instid0(VALU_DEP_3) | instskip(SKIP_3) | instid1(VALU_DEP_3)
	v_and_b32_e32 v22, -8, v22
	v_lshrrev_b64 v[10:11], 1, v[14:15]
	v_lshl_add_u64 v[8:9], v[0:1], 3, s[18:19]
	s_lshl_b64 s[18:19], s[8:9], 3
	v_add_nc_u64_e32 v[16:17], s[12:13], v[22:23]
	v_add_nc_u64_e32 v[14:15], s[4:5], v[24:25]
	s_lshl_b64 s[4:5], s[16:17], 3
	s_branch .LBB7_5
.LBB7_2:                                ;   in Loop: Header=BB7_5 Depth=1
	s_or_b32 exec_lo, exec_lo, s3
	s_wait_loadcnt 0x0
	v_mov_b64_e32 v[22:23], v[20:21]
.LBB7_3:                                ;   in Loop: Header=BB7_5 Depth=1
	s_wait_kmcnt 0x0
	s_mul_u64 s[24:25], s[6:7], s[20:21]
	s_wait_loadcnt 0x0
	s_wait_xcnt 0x0
	v_lshl_add_u64 v[20:21], s[24:25], 3, v[8:9]
	global_store_b64 v[20:21], v[22:23], off
.LBB7_4:                                ;   in Loop: Header=BB7_5 Depth=1
	s_wait_xcnt 0x0
	s_or_b32 exec_lo, exec_lo, s33
	s_add_co_i32 s20, s20, 0x10000
	s_delay_alu instid0(SALU_CYCLE_1)
	s_cmp_lt_u32 s20, s30
	s_cbranch_scc0 .LBB7_21
.LBB7_5:                                ; =>This Loop Header: Depth=1
                                        ;     Child Loop BB7_11 Depth 2
                                        ;     Child Loop BB7_19 Depth 2
	s_and_saveexec_b32 s33, s0
	s_cbranch_execz .LBB7_4
; %bb.6:                                ;   in Loop: Header=BB7_5 Depth=1
	s_mul_u64 s[24:25], s[16:17], s[20:21]
	v_cmp_ne_u32_e64 s3, 1, v3
	s_lshl_b64 s[24:25], s[24:25], 3
	s_mul_u64 s[26:27], s[18:19], s[20:21]
	s_add_nc_u64 s[24:25], s[10:11], s[24:25]
	s_and_b32 vcc_lo, exec_lo, s31
	v_lshl_add_u64 v[20:21], v[6:7], 3, s[24:25]
	s_mul_u64 s[24:25], s[8:9], s[20:21]
	s_mov_b32 s34, -1
	s_lshl_b64 s[28:29], s[24:25], 3
	s_mul_u64 s[24:25], s[4:5], s[20:21]
	global_load_b64 v[20:21], v[20:21], off
	s_add_nc_u64 s[28:29], s[12:13], s[28:29]
                                        ; implicit-def: $vgpr22_vgpr23
	s_cbranch_vccz .LBB7_14
; %bb.7:                                ;   in Loop: Header=BB7_5 Depth=1
	s_wait_loadcnt 0x0
	v_mov_b64_e32 v[22:23], v[20:21]
	s_and_b32 vcc_lo, exec_lo, s3
	s_cbranch_vccnz .LBB7_9
; %bb.8:                                ;   in Loop: Header=BB7_5 Depth=1
	v_lshl_add_u64 v[22:23], v[12:13], 3, s[28:29]
	global_load_b64 v[22:23], v[22:23], off
	s_wait_loadcnt 0x0
	v_pk_mul_f32 v[24:25], v[20:21], v[22:23] op_sel:[1,1] op_sel_hi:[0,1]
	s_delay_alu instid0(VALU_DEP_1) | instskip(SKIP_2) | instid1(VALU_DEP_2)
	v_pk_fma_f32 v[26:27], v[20:21], v[22:23], v[24:25] op_sel_hi:[1,0,1]
	s_wait_xcnt 0x0
	v_pk_fma_f32 v[22:23], v[20:21], v[22:23], v[24:25] neg_lo:[0,0,1] neg_hi:[0,0,1]
	v_mov_b32_e32 v23, v27
.LBB7_9:                                ;   in Loop: Header=BB7_5 Depth=1
	s_wait_xcnt 0x0
	s_and_saveexec_b32 s3, s2
	s_cbranch_execz .LBB7_13
; %bb.10:                               ;   in Loop: Header=BB7_5 Depth=1
	v_add_nc_u64_e32 v[24:25], s[24:25], v[18:19]
	v_add_nc_u64_e32 v[26:27], s[26:27], v[14:15]
	v_mov_b32_e32 v4, v2
	s_mov_b32 s34, 0
.LBB7_11:                               ;   Parent Loop BB7_5 Depth=1
                                        ; =>  This Inner Loop Header: Depth=2
	global_load_b64 v[28:29], v[26:27], off
	global_load_b64 v[30:31], v[24:25], off
	s_wait_xcnt 0x0
	v_add_nc_u64_e32 v[24:25], s[14:15], v[24:25]
	v_add_nc_u64_e32 v[26:27], 8, v[26:27]
	s_wait_loadcnt 0x0
	v_pk_mul_f32 v[32:33], v[30:31], v[28:29] op_sel:[1,1] op_sel_hi:[0,1]
	s_delay_alu instid0(VALU_DEP_1) | instskip(SKIP_2) | instid1(VALU_DEP_3)
	v_pk_fma_f32 v[34:35], v[30:31], v[28:29], v[32:33] op_sel_hi:[1,0,1]
	v_add_nc_u32_e32 v4, 1, v4
	v_pk_fma_f32 v[28:29], v[30:31], v[28:29], v[32:33] neg_lo:[0,0,1] neg_hi:[0,0,1]
	v_mov_b32_e32 v29, v35
	s_delay_alu instid0(VALU_DEP_3) | instskip(NEXT) | instid1(VALU_DEP_2)
	v_cmp_le_i32_e32 vcc_lo, s23, v4
	v_pk_add_f32 v[22:23], v[22:23], v[28:29]
	s_or_b32 s34, vcc_lo, s34
	s_delay_alu instid0(SALU_CYCLE_1)
	s_and_not1_b32 exec_lo, exec_lo, s34
	s_cbranch_execnz .LBB7_11
; %bb.12:                               ;   in Loop: Header=BB7_5 Depth=1
	s_or_b32 exec_lo, exec_lo, s34
.LBB7_13:                               ;   in Loop: Header=BB7_5 Depth=1
	s_delay_alu instid0(SALU_CYCLE_1)
	s_or_b32 exec_lo, exec_lo, s3
	s_mov_b32 s34, 0
.LBB7_14:                               ;   in Loop: Header=BB7_5 Depth=1
	s_delay_alu instid0(SALU_CYCLE_1)
	s_and_b32 vcc_lo, exec_lo, s34
	s_cbranch_vccz .LBB7_3
; %bb.15:                               ;   in Loop: Header=BB7_5 Depth=1
	s_and_not1_b32 vcc_lo, exec_lo, s22
	s_cbranch_vccnz .LBB7_17
; %bb.16:                               ;   in Loop: Header=BB7_5 Depth=1
	v_lshl_add_u64 v[22:23], v[10:11], 3, s[28:29]
	s_delay_alu instid0(VALU_DEP_1) | instskip(SKIP_3) | instid1(VALU_DEP_1)
	v_lshl_add_u64 v[22:23], v[0:1], 3, v[22:23]
	global_load_b64 v[22:23], v[22:23], off
	s_wait_loadcnt 0x0
	v_pk_mul_f32 v[24:25], v[20:21], v[22:23] op_sel:[1,1] op_sel_hi:[0,1]
	v_pk_fma_f32 v[26:27], v[20:21], v[22:23], v[24:25] op_sel_hi:[1,0,1]
	s_wait_xcnt 0x1
	v_pk_fma_f32 v[20:21], v[20:21], v[22:23], v[24:25] neg_lo:[0,0,1] neg_hi:[0,0,1]
	s_delay_alu instid0(VALU_DEP_2)
	v_mov_b32_e32 v21, v27
.LBB7_17:                               ;   in Loop: Header=BB7_5 Depth=1
	s_wait_xcnt 0x0
	s_and_saveexec_b32 s3, s1
	s_cbranch_execz .LBB7_2
; %bb.18:                               ;   in Loop: Header=BB7_5 Depth=1
	v_add_nc_u64_e32 v[22:23], s[26:27], v[16:17]
	v_mov_b32_e32 v4, v0
	s_add_nc_u64 s[24:25], s[10:11], s[24:25]
	s_mov_b32 s26, 0
.LBB7_19:                               ;   Parent Loop BB7_5 Depth=1
                                        ; =>  This Inner Loop Header: Depth=2
	global_load_b64 v[24:25], v[22:23], off
	global_load_b64 v[26:27], v5, s[24:25]
	s_wait_xcnt 0x1
	v_add_nc_u64_e32 v[22:23], 8, v[22:23]
	s_wait_xcnt 0x0
	s_add_nc_u64 s[24:25], s[24:25], s[14:15]
	s_wait_loadcnt 0x0
	v_pk_mul_f32 v[28:29], v[26:27], v[24:25] op_sel:[1,1] op_sel_hi:[0,1]
	s_delay_alu instid0(VALU_DEP_1) | instskip(SKIP_2) | instid1(VALU_DEP_3)
	v_pk_fma_f32 v[30:31], v[26:27], v[24:25], v[28:29] op_sel_hi:[1,0,1]
	v_add_nc_u32_e32 v4, -1, v4
	v_pk_fma_f32 v[24:25], v[26:27], v[24:25], v[28:29] neg_lo:[0,0,1] neg_hi:[0,0,1]
	v_mov_b32_e32 v25, v31
	s_delay_alu instid0(VALU_DEP_3) | instskip(NEXT) | instid1(VALU_DEP_2)
	v_cmp_eq_u32_e32 vcc_lo, 0, v4
	v_pk_add_f32 v[20:21], v[20:21], v[24:25]
	s_or_b32 s26, vcc_lo, s26
	s_delay_alu instid0(SALU_CYCLE_1)
	s_and_not1_b32 exec_lo, exec_lo, s26
	s_cbranch_execnz .LBB7_19
; %bb.20:                               ;   in Loop: Header=BB7_5 Depth=1
	s_or_b32 exec_lo, exec_lo, s26
	s_branch .LBB7_2
.LBB7_21:
	s_endpgm
	.section	.rodata,"a",@progbits
	.p2align	6, 0x0
	.amdhsa_kernel _ZL20rocblas_tpmvt_kernelILi512EPK19rocblas_complex_numIfEPS1_S4_EvbbiT0_llT1_lllT2_li
		.amdhsa_group_segment_fixed_size 0
		.amdhsa_private_segment_fixed_size 0
		.amdhsa_kernarg_size 344
		.amdhsa_user_sgpr_count 2
		.amdhsa_user_sgpr_dispatch_ptr 0
		.amdhsa_user_sgpr_queue_ptr 0
		.amdhsa_user_sgpr_kernarg_segment_ptr 1
		.amdhsa_user_sgpr_dispatch_id 0
		.amdhsa_user_sgpr_kernarg_preload_length 0
		.amdhsa_user_sgpr_kernarg_preload_offset 0
		.amdhsa_user_sgpr_private_segment_size 0
		.amdhsa_wavefront_size32 1
		.amdhsa_uses_dynamic_stack 0
		.amdhsa_enable_private_segment 0
		.amdhsa_system_sgpr_workgroup_id_x 1
		.amdhsa_system_sgpr_workgroup_id_y 0
		.amdhsa_system_sgpr_workgroup_id_z 1
		.amdhsa_system_sgpr_workgroup_info 0
		.amdhsa_system_vgpr_workitem_id 0
		.amdhsa_next_free_vgpr 36
		.amdhsa_next_free_sgpr 35
		.amdhsa_named_barrier_count 0
		.amdhsa_reserve_vcc 1
		.amdhsa_float_round_mode_32 0
		.amdhsa_float_round_mode_16_64 0
		.amdhsa_float_denorm_mode_32 3
		.amdhsa_float_denorm_mode_16_64 3
		.amdhsa_fp16_overflow 0
		.amdhsa_memory_ordered 1
		.amdhsa_forward_progress 1
		.amdhsa_inst_pref_size 9
		.amdhsa_round_robin_scheduling 0
		.amdhsa_exception_fp_ieee_invalid_op 0
		.amdhsa_exception_fp_denorm_src 0
		.amdhsa_exception_fp_ieee_div_zero 0
		.amdhsa_exception_fp_ieee_overflow 0
		.amdhsa_exception_fp_ieee_underflow 0
		.amdhsa_exception_fp_ieee_inexact 0
		.amdhsa_exception_int_div_zero 0
	.end_amdhsa_kernel
	.section	.text._ZL20rocblas_tpmvt_kernelILi512EPK19rocblas_complex_numIfEPS1_S4_EvbbiT0_llT1_lllT2_li,"axG",@progbits,_ZL20rocblas_tpmvt_kernelILi512EPK19rocblas_complex_numIfEPS1_S4_EvbbiT0_llT1_lllT2_li,comdat
.Lfunc_end7:
	.size	_ZL20rocblas_tpmvt_kernelILi512EPK19rocblas_complex_numIfEPS1_S4_EvbbiT0_llT1_lllT2_li, .Lfunc_end7-_ZL20rocblas_tpmvt_kernelILi512EPK19rocblas_complex_numIfEPS1_S4_EvbbiT0_llT1_lllT2_li
                                        ; -- End function
	.set _ZL20rocblas_tpmvt_kernelILi512EPK19rocblas_complex_numIfEPS1_S4_EvbbiT0_llT1_lllT2_li.num_vgpr, 36
	.set _ZL20rocblas_tpmvt_kernelILi512EPK19rocblas_complex_numIfEPS1_S4_EvbbiT0_llT1_lllT2_li.num_agpr, 0
	.set _ZL20rocblas_tpmvt_kernelILi512EPK19rocblas_complex_numIfEPS1_S4_EvbbiT0_llT1_lllT2_li.numbered_sgpr, 35
	.set _ZL20rocblas_tpmvt_kernelILi512EPK19rocblas_complex_numIfEPS1_S4_EvbbiT0_llT1_lllT2_li.num_named_barrier, 0
	.set _ZL20rocblas_tpmvt_kernelILi512EPK19rocblas_complex_numIfEPS1_S4_EvbbiT0_llT1_lllT2_li.private_seg_size, 0
	.set _ZL20rocblas_tpmvt_kernelILi512EPK19rocblas_complex_numIfEPS1_S4_EvbbiT0_llT1_lllT2_li.uses_vcc, 1
	.set _ZL20rocblas_tpmvt_kernelILi512EPK19rocblas_complex_numIfEPS1_S4_EvbbiT0_llT1_lllT2_li.uses_flat_scratch, 0
	.set _ZL20rocblas_tpmvt_kernelILi512EPK19rocblas_complex_numIfEPS1_S4_EvbbiT0_llT1_lllT2_li.has_dyn_sized_stack, 0
	.set _ZL20rocblas_tpmvt_kernelILi512EPK19rocblas_complex_numIfEPS1_S4_EvbbiT0_llT1_lllT2_li.has_recursion, 0
	.set _ZL20rocblas_tpmvt_kernelILi512EPK19rocblas_complex_numIfEPS1_S4_EvbbiT0_llT1_lllT2_li.has_indirect_call, 0
	.section	.AMDGPU.csdata,"",@progbits
; Kernel info:
; codeLenInByte = 1072
; TotalNumSgprs: 37
; NumVgprs: 36
; ScratchSize: 0
; MemoryBound: 0
; FloatMode: 240
; IeeeMode: 1
; LDSByteSize: 0 bytes/workgroup (compile time only)
; SGPRBlocks: 0
; VGPRBlocks: 2
; NumSGPRsForWavesPerEU: 37
; NumVGPRsForWavesPerEU: 36
; NamedBarCnt: 0
; Occupancy: 16
; WaveLimiterHint : 0
; COMPUTE_PGM_RSRC2:SCRATCH_EN: 0
; COMPUTE_PGM_RSRC2:USER_SGPR: 2
; COMPUTE_PGM_RSRC2:TRAP_HANDLER: 0
; COMPUTE_PGM_RSRC2:TGID_X_EN: 1
; COMPUTE_PGM_RSRC2:TGID_Y_EN: 0
; COMPUTE_PGM_RSRC2:TGID_Z_EN: 1
; COMPUTE_PGM_RSRC2:TIDIG_COMP_CNT: 0
	.section	.text._ZL20rocblas_tpmvc_kernelILi512EPK19rocblas_complex_numIfEPS1_S4_EvbbiT0_llT1_lllT2_li,"axG",@progbits,_ZL20rocblas_tpmvc_kernelILi512EPK19rocblas_complex_numIfEPS1_S4_EvbbiT0_llT1_lllT2_li,comdat
	.globl	_ZL20rocblas_tpmvc_kernelILi512EPK19rocblas_complex_numIfEPS1_S4_EvbbiT0_llT1_lllT2_li ; -- Begin function _ZL20rocblas_tpmvc_kernelILi512EPK19rocblas_complex_numIfEPS1_S4_EvbbiT0_llT1_lllT2_li
	.p2align	8
	.type	_ZL20rocblas_tpmvc_kernelILi512EPK19rocblas_complex_numIfEPS1_S4_EvbbiT0_llT1_lllT2_li,@function
_ZL20rocblas_tpmvc_kernelILi512EPK19rocblas_complex_numIfEPS1_S4_EvbbiT0_llT1_lllT2_li: ; @_ZL20rocblas_tpmvc_kernelILi512EPK19rocblas_complex_numIfEPS1_S4_EvbbiT0_llT1_lllT2_li
; %bb.0:
	s_load_b32 s30, s[0:1], 0x50
	s_bfe_u32 s2, ttmp6, 0x40014
	s_lshr_b32 s3, ttmp7, 16
	s_add_co_i32 s2, s2, 1
	s_bfe_u32 s5, ttmp6, 0x40008
	s_mul_i32 s4, s3, s2
	s_getreg_b32 s2, hwreg(HW_REG_IB_STS2, 6, 4)
	s_add_co_i32 s5, s5, s4
	s_cmp_eq_u32 s2, 0
	s_mov_b32 s21, 0
	s_cselect_b32 s20, s3, s5
	s_wait_kmcnt 0x0
	s_cmp_ge_u32 s20, s30
	s_cbranch_scc1 .LBB8_21
; %bb.1:
	s_clause 0x3
	s_load_b32 s3, s[0:1], 0x0
	s_load_b64 s[22:23], s[0:1], 0x0
	s_load_b512 s[4:19], s[0:1], 0x8
	s_load_b32 s28, s[0:1], 0x64
	s_wait_kmcnt 0x0
	s_bitcmp1_b32 s3, 0
	s_cselect_b32 s3, -1, 0
	s_delay_alu instid0(SALU_CYCLE_1)
	s_xor_b32 s31, s3, -1
	s_bitcmp1_b32 s22, 8
	s_cselect_b32 s3, -1, 0
	s_lshl_b64 s[24:25], s[6:7], 3
	s_bfe_u32 s6, ttmp6, 0x4000c
	s_lshl_b64 s[26:27], s[12:13], 3
	s_add_co_i32 s6, s6, 1
	s_and_b32 s12, ttmp6, 15
	s_mul_i32 s6, ttmp9, s6
	s_and_b32 s7, s28, 0xffff
	s_xor_b32 s22, s3, -1
	s_add_co_i32 s12, s12, s6
	s_cmp_eq_u32 s2, 0
	s_add_nc_u64 s[10:11], s[10:11], s[26:27]
	s_cselect_b32 s2, ttmp9, s12
	s_ashr_i32 s3, s23, 31
	v_mad_u32 v0, s2, s7, v0
	s_mov_b32 s2, s23
	s_add_nc_u64 s[12:13], s[4:5], s[24:25]
	s_lshl_b64 s[6:7], s[2:3], 3
	s_delay_alu instid0(SALU_CYCLE_1) | instskip(NEXT) | instid1(VALU_DEP_1)
	s_add_nc_u64 s[6:7], s[6:7], -8
	v_dual_ashrrev_i32 v1, 31, v0 :: v_dual_add_nc_u32 v2, 1, v0
	v_mad_nc_u64_u32 v[8:9], s6, v0, s[24:25]
	s_delay_alu instid0(VALU_DEP_2) | instskip(NEXT) | instid1(VALU_DEP_3)
	v_add_nc_u64_e32 v[4:5], -1, v[0:1]
	v_ashrrev_i32_e32 v3, 31, v2
	v_mul_u64_e32 v[14:15], s[2:3], v[0:1]
	v_cmp_gt_i32_e64 s2, s23, v2
	s_delay_alu instid0(VALU_DEP_4) | instskip(SKIP_1) | instid1(VALU_DEP_1)
	v_mul_u64_e32 v[6:7], v[4:5], v[0:1]
	v_dual_mov_b32 v5, 0 :: v_dual_mov_b32 v4, v2
	v_mul_u64_e32 v[10:11], v[4:5], v[0:1]
	v_mad_u32 v4, s7, v0, v9
	s_delay_alu instid0(VALU_DEP_1) | instskip(SKIP_4) | instid1(VALU_DEP_3)
	v_mad_u32 v9, s6, v1, v4
	s_load_b64 s[6:7], s[0:1], 0x48
	s_wait_xcnt 0x0
	v_cmp_gt_i32_e64 s0, s23, v0
	v_cmp_lt_i32_e64 s1, 0, v0
	v_lshl_add_u64 v[8:9], v[2:3], 3, v[8:9]
	v_lshrrev_b64 v[16:17], 1, v[6:7]
	v_mul_u64_e32 v[6:7], s[14:15], v[0:1]
	v_lshlrev_b64_e32 v[10:11], 2, v[10:11]
	s_delay_alu instid0(VALU_DEP_3) | instskip(NEXT) | instid1(VALU_DEP_2)
	v_lshlrev_b64_e32 v[20:21], 3, v[16:17]
	v_and_b32_e32 v10, -8, v10
	s_delay_alu instid0(VALU_DEP_2) | instskip(SKIP_2) | instid1(VALU_DEP_3)
	v_sub_nc_u64_e32 v[20:21], v[8:9], v[20:21]
	v_lshl_add_u64 v[8:9], v[0:1], 3, s[18:19]
	s_lshl_b64 s[18:19], s[8:9], 3
	v_add_nc_u64_e32 v[22:23], s[12:13], v[10:11]
	s_delay_alu instid0(VALU_DEP_3) | instskip(SKIP_4) | instid1(VALU_DEP_3)
	v_or_b32_e32 v20, 4, v20
	v_mul_u64_e32 v[12:13], v[2:3], v[0:1]
	v_mul_u64_e32 v[18:19], s[14:15], v[2:3]
	v_cndmask_b32_e64 v3, 0, 1, s22
	s_lshl_b64 s[14:15], s[14:15], 3
	v_lshrrev_b64 v[10:11], 1, v[12:13]
	v_sub_nc_u64_e32 v[12:13], v[14:15], v[16:17]
	v_add_nc_u64_e32 v[14:15], s[4:5], v[20:21]
	v_add_nc_u64_e32 v[16:17], 4, v[22:23]
	v_lshl_add_u64 v[18:19], v[18:19], 3, s[10:11]
	s_lshl_b64 s[4:5], s[16:17], 3
	s_branch .LBB8_5
.LBB8_2:                                ;   in Loop: Header=BB8_5 Depth=1
	s_or_b32 exec_lo, exec_lo, s3
	s_wait_loadcnt 0x0
	v_mov_b64_e32 v[22:23], v[20:21]
.LBB8_3:                                ;   in Loop: Header=BB8_5 Depth=1
	s_wait_kmcnt 0x0
	s_mul_u64 s[24:25], s[6:7], s[20:21]
	s_wait_loadcnt 0x0
	s_wait_xcnt 0x0
	v_lshl_add_u64 v[20:21], s[24:25], 3, v[8:9]
	global_store_b64 v[20:21], v[22:23], off
.LBB8_4:                                ;   in Loop: Header=BB8_5 Depth=1
	s_wait_xcnt 0x0
	s_or_b32 exec_lo, exec_lo, s33
	s_add_co_i32 s20, s20, 0x10000
	s_delay_alu instid0(SALU_CYCLE_1)
	s_cmp_lt_u32 s20, s30
	s_cbranch_scc0 .LBB8_21
.LBB8_5:                                ; =>This Loop Header: Depth=1
                                        ;     Child Loop BB8_11 Depth 2
                                        ;     Child Loop BB8_19 Depth 2
	s_and_saveexec_b32 s33, s0
	s_cbranch_execz .LBB8_4
; %bb.6:                                ;   in Loop: Header=BB8_5 Depth=1
	s_mul_u64 s[24:25], s[16:17], s[20:21]
	v_cmp_ne_u32_e64 s3, 1, v3
	s_lshl_b64 s[24:25], s[24:25], 3
	s_mul_u64 s[26:27], s[18:19], s[20:21]
	s_add_nc_u64 s[24:25], s[10:11], s[24:25]
	s_and_b32 vcc_lo, exec_lo, s31
	v_lshl_add_u64 v[20:21], v[6:7], 3, s[24:25]
	s_mul_u64 s[24:25], s[8:9], s[20:21]
	s_mov_b32 s34, -1
	s_lshl_b64 s[28:29], s[24:25], 3
	s_mul_u64 s[24:25], s[4:5], s[20:21]
	global_load_b64 v[20:21], v[20:21], off
	s_add_nc_u64 s[28:29], s[12:13], s[28:29]
                                        ; implicit-def: $vgpr22_vgpr23
	s_cbranch_vccz .LBB8_14
; %bb.7:                                ;   in Loop: Header=BB8_5 Depth=1
	s_wait_loadcnt 0x0
	v_mov_b64_e32 v[22:23], v[20:21]
	s_and_b32 vcc_lo, exec_lo, s3
	s_cbranch_vccnz .LBB8_9
; %bb.8:                                ;   in Loop: Header=BB8_5 Depth=1
	v_lshl_add_u64 v[22:23], v[12:13], 3, s[28:29]
	global_load_b64 v[22:23], v[22:23], off
	s_wait_loadcnt 0x0
	v_pk_mul_f32 v[24:25], v[20:21], v[22:23] op_sel:[1,1] op_sel_hi:[0,1]
	s_delay_alu instid0(VALU_DEP_1) | instskip(SKIP_2) | instid1(VALU_DEP_2)
	v_pk_fma_f32 v[26:27], v[20:21], v[22:23], v[24:25] op_sel_hi:[1,0,1] neg_lo:[0,0,1] neg_hi:[0,0,1]
	s_wait_xcnt 0x0
	v_pk_fma_f32 v[22:23], v[20:21], v[22:23], v[24:25]
	v_mov_b32_e32 v23, v27
.LBB8_9:                                ;   in Loop: Header=BB8_5 Depth=1
	s_wait_xcnt 0x0
	s_and_saveexec_b32 s3, s2
	s_cbranch_execz .LBB8_13
; %bb.10:                               ;   in Loop: Header=BB8_5 Depth=1
	v_add_nc_u64_e32 v[24:25], s[24:25], v[18:19]
	v_add_nc_u64_e32 v[26:27], s[26:27], v[14:15]
	v_mov_b32_e32 v4, v2
	s_mov_b32 s34, 0
.LBB8_11:                               ;   Parent Loop BB8_5 Depth=1
                                        ; =>  This Inner Loop Header: Depth=2
	global_load_b64 v[28:29], v[26:27], off offset:-4
	global_load_b64 v[30:31], v[24:25], off
	s_wait_xcnt 0x0
	v_add_nc_u64_e32 v[24:25], s[14:15], v[24:25]
	v_add_nc_u64_e32 v[26:27], 8, v[26:27]
	s_wait_loadcnt 0x0
	v_pk_mul_f32 v[32:33], v[28:29], v[30:31] op_sel:[1,1] op_sel_hi:[1,0]
	s_delay_alu instid0(VALU_DEP_1) | instskip(SKIP_2) | instid1(VALU_DEP_3)
	v_pk_fma_f32 v[34:35], v[28:29], v[30:31], v[32:33] op_sel_hi:[0,1,1] neg_lo:[0,0,1] neg_hi:[0,0,1]
	v_add_nc_u32_e32 v4, 1, v4
	v_pk_fma_f32 v[28:29], v[28:29], v[30:31], v[32:33]
	v_mov_b32_e32 v29, v35
	s_delay_alu instid0(VALU_DEP_3) | instskip(NEXT) | instid1(VALU_DEP_2)
	v_cmp_le_i32_e32 vcc_lo, s23, v4
	v_pk_add_f32 v[22:23], v[22:23], v[28:29]
	s_or_b32 s34, vcc_lo, s34
	s_delay_alu instid0(SALU_CYCLE_1)
	s_and_not1_b32 exec_lo, exec_lo, s34
	s_cbranch_execnz .LBB8_11
; %bb.12:                               ;   in Loop: Header=BB8_5 Depth=1
	s_or_b32 exec_lo, exec_lo, s34
.LBB8_13:                               ;   in Loop: Header=BB8_5 Depth=1
	s_delay_alu instid0(SALU_CYCLE_1)
	s_or_b32 exec_lo, exec_lo, s3
	s_mov_b32 s34, 0
.LBB8_14:                               ;   in Loop: Header=BB8_5 Depth=1
	s_delay_alu instid0(SALU_CYCLE_1)
	s_and_b32 vcc_lo, exec_lo, s34
	s_cbranch_vccz .LBB8_3
; %bb.15:                               ;   in Loop: Header=BB8_5 Depth=1
	s_and_not1_b32 vcc_lo, exec_lo, s22
	s_cbranch_vccnz .LBB8_17
; %bb.16:                               ;   in Loop: Header=BB8_5 Depth=1
	v_lshl_add_u64 v[22:23], v[10:11], 3, s[28:29]
	s_delay_alu instid0(VALU_DEP_1) | instskip(SKIP_3) | instid1(VALU_DEP_1)
	v_lshl_add_u64 v[22:23], v[0:1], 3, v[22:23]
	global_load_b64 v[22:23], v[22:23], off
	s_wait_loadcnt 0x0
	v_pk_mul_f32 v[24:25], v[20:21], v[22:23] op_sel:[1,1] op_sel_hi:[0,1]
	v_pk_fma_f32 v[26:27], v[20:21], v[22:23], v[24:25] op_sel_hi:[1,0,1] neg_lo:[0,0,1] neg_hi:[0,0,1]
	s_wait_xcnt 0x1
	v_pk_fma_f32 v[20:21], v[20:21], v[22:23], v[24:25]
	s_delay_alu instid0(VALU_DEP_2)
	v_mov_b32_e32 v21, v27
.LBB8_17:                               ;   in Loop: Header=BB8_5 Depth=1
	s_wait_xcnt 0x0
	s_and_saveexec_b32 s3, s1
	s_cbranch_execz .LBB8_2
; %bb.18:                               ;   in Loop: Header=BB8_5 Depth=1
	v_add_nc_u64_e32 v[22:23], s[26:27], v[16:17]
	v_mov_b32_e32 v4, v0
	s_add_nc_u64 s[24:25], s[10:11], s[24:25]
	s_mov_b32 s26, 0
.LBB8_19:                               ;   Parent Loop BB8_5 Depth=1
                                        ; =>  This Inner Loop Header: Depth=2
	global_load_b64 v[24:25], v[22:23], off offset:-4
	global_load_b64 v[26:27], v5, s[24:25]
	s_wait_xcnt 0x1
	v_add_nc_u64_e32 v[22:23], 8, v[22:23]
	s_wait_xcnt 0x0
	s_add_nc_u64 s[24:25], s[24:25], s[14:15]
	s_wait_loadcnt 0x0
	v_pk_mul_f32 v[28:29], v[24:25], v[26:27] op_sel:[1,1] op_sel_hi:[1,0]
	s_delay_alu instid0(VALU_DEP_1) | instskip(SKIP_2) | instid1(VALU_DEP_3)
	v_pk_fma_f32 v[30:31], v[24:25], v[26:27], v[28:29] op_sel_hi:[0,1,1] neg_lo:[0,0,1] neg_hi:[0,0,1]
	v_add_nc_u32_e32 v4, -1, v4
	v_pk_fma_f32 v[24:25], v[24:25], v[26:27], v[28:29]
	v_mov_b32_e32 v25, v31
	s_delay_alu instid0(VALU_DEP_3) | instskip(NEXT) | instid1(VALU_DEP_2)
	v_cmp_eq_u32_e32 vcc_lo, 0, v4
	v_pk_add_f32 v[20:21], v[20:21], v[24:25]
	s_or_b32 s26, vcc_lo, s26
	s_delay_alu instid0(SALU_CYCLE_1)
	s_and_not1_b32 exec_lo, exec_lo, s26
	s_cbranch_execnz .LBB8_19
; %bb.20:                               ;   in Loop: Header=BB8_5 Depth=1
	s_or_b32 exec_lo, exec_lo, s26
	s_branch .LBB8_2
.LBB8_21:
	s_endpgm
	.section	.rodata,"a",@progbits
	.p2align	6, 0x0
	.amdhsa_kernel _ZL20rocblas_tpmvc_kernelILi512EPK19rocblas_complex_numIfEPS1_S4_EvbbiT0_llT1_lllT2_li
		.amdhsa_group_segment_fixed_size 0
		.amdhsa_private_segment_fixed_size 0
		.amdhsa_kernarg_size 344
		.amdhsa_user_sgpr_count 2
		.amdhsa_user_sgpr_dispatch_ptr 0
		.amdhsa_user_sgpr_queue_ptr 0
		.amdhsa_user_sgpr_kernarg_segment_ptr 1
		.amdhsa_user_sgpr_dispatch_id 0
		.amdhsa_user_sgpr_kernarg_preload_length 0
		.amdhsa_user_sgpr_kernarg_preload_offset 0
		.amdhsa_user_sgpr_private_segment_size 0
		.amdhsa_wavefront_size32 1
		.amdhsa_uses_dynamic_stack 0
		.amdhsa_enable_private_segment 0
		.amdhsa_system_sgpr_workgroup_id_x 1
		.amdhsa_system_sgpr_workgroup_id_y 0
		.amdhsa_system_sgpr_workgroup_id_z 1
		.amdhsa_system_sgpr_workgroup_info 0
		.amdhsa_system_vgpr_workitem_id 0
		.amdhsa_next_free_vgpr 36
		.amdhsa_next_free_sgpr 35
		.amdhsa_named_barrier_count 0
		.amdhsa_reserve_vcc 1
		.amdhsa_float_round_mode_32 0
		.amdhsa_float_round_mode_16_64 0
		.amdhsa_float_denorm_mode_32 3
		.amdhsa_float_denorm_mode_16_64 3
		.amdhsa_fp16_overflow 0
		.amdhsa_memory_ordered 1
		.amdhsa_forward_progress 1
		.amdhsa_inst_pref_size 9
		.amdhsa_round_robin_scheduling 0
		.amdhsa_exception_fp_ieee_invalid_op 0
		.amdhsa_exception_fp_denorm_src 0
		.amdhsa_exception_fp_ieee_div_zero 0
		.amdhsa_exception_fp_ieee_overflow 0
		.amdhsa_exception_fp_ieee_underflow 0
		.amdhsa_exception_fp_ieee_inexact 0
		.amdhsa_exception_int_div_zero 0
	.end_amdhsa_kernel
	.section	.text._ZL20rocblas_tpmvc_kernelILi512EPK19rocblas_complex_numIfEPS1_S4_EvbbiT0_llT1_lllT2_li,"axG",@progbits,_ZL20rocblas_tpmvc_kernelILi512EPK19rocblas_complex_numIfEPS1_S4_EvbbiT0_llT1_lllT2_li,comdat
.Lfunc_end8:
	.size	_ZL20rocblas_tpmvc_kernelILi512EPK19rocblas_complex_numIfEPS1_S4_EvbbiT0_llT1_lllT2_li, .Lfunc_end8-_ZL20rocblas_tpmvc_kernelILi512EPK19rocblas_complex_numIfEPS1_S4_EvbbiT0_llT1_lllT2_li
                                        ; -- End function
	.set _ZL20rocblas_tpmvc_kernelILi512EPK19rocblas_complex_numIfEPS1_S4_EvbbiT0_llT1_lllT2_li.num_vgpr, 36
	.set _ZL20rocblas_tpmvc_kernelILi512EPK19rocblas_complex_numIfEPS1_S4_EvbbiT0_llT1_lllT2_li.num_agpr, 0
	.set _ZL20rocblas_tpmvc_kernelILi512EPK19rocblas_complex_numIfEPS1_S4_EvbbiT0_llT1_lllT2_li.numbered_sgpr, 35
	.set _ZL20rocblas_tpmvc_kernelILi512EPK19rocblas_complex_numIfEPS1_S4_EvbbiT0_llT1_lllT2_li.num_named_barrier, 0
	.set _ZL20rocblas_tpmvc_kernelILi512EPK19rocblas_complex_numIfEPS1_S4_EvbbiT0_llT1_lllT2_li.private_seg_size, 0
	.set _ZL20rocblas_tpmvc_kernelILi512EPK19rocblas_complex_numIfEPS1_S4_EvbbiT0_llT1_lllT2_li.uses_vcc, 1
	.set _ZL20rocblas_tpmvc_kernelILi512EPK19rocblas_complex_numIfEPS1_S4_EvbbiT0_llT1_lllT2_li.uses_flat_scratch, 0
	.set _ZL20rocblas_tpmvc_kernelILi512EPK19rocblas_complex_numIfEPS1_S4_EvbbiT0_llT1_lllT2_li.has_dyn_sized_stack, 0
	.set _ZL20rocblas_tpmvc_kernelILi512EPK19rocblas_complex_numIfEPS1_S4_EvbbiT0_llT1_lllT2_li.has_recursion, 0
	.set _ZL20rocblas_tpmvc_kernelILi512EPK19rocblas_complex_numIfEPS1_S4_EvbbiT0_llT1_lllT2_li.has_indirect_call, 0
	.section	.AMDGPU.csdata,"",@progbits
; Kernel info:
; codeLenInByte = 1084
; TotalNumSgprs: 37
; NumVgprs: 36
; ScratchSize: 0
; MemoryBound: 0
; FloatMode: 240
; IeeeMode: 1
; LDSByteSize: 0 bytes/workgroup (compile time only)
; SGPRBlocks: 0
; VGPRBlocks: 2
; NumSGPRsForWavesPerEU: 37
; NumVGPRsForWavesPerEU: 36
; NamedBarCnt: 0
; Occupancy: 16
; WaveLimiterHint : 0
; COMPUTE_PGM_RSRC2:SCRATCH_EN: 0
; COMPUTE_PGM_RSRC2:USER_SGPR: 2
; COMPUTE_PGM_RSRC2:TRAP_HANDLER: 0
; COMPUTE_PGM_RSRC2:TGID_X_EN: 1
; COMPUTE_PGM_RSRC2:TGID_Y_EN: 0
; COMPUTE_PGM_RSRC2:TGID_Z_EN: 1
; COMPUTE_PGM_RSRC2:TIDIG_COMP_CNT: 0
	.section	.text._ZL20rocblas_tpmvn_kernelILi512EPK19rocblas_complex_numIdEPS1_S4_EvbbiT0_llT1_lllT2_li,"axG",@progbits,_ZL20rocblas_tpmvn_kernelILi512EPK19rocblas_complex_numIdEPS1_S4_EvbbiT0_llT1_lllT2_li,comdat
	.globl	_ZL20rocblas_tpmvn_kernelILi512EPK19rocblas_complex_numIdEPS1_S4_EvbbiT0_llT1_lllT2_li ; -- Begin function _ZL20rocblas_tpmvn_kernelILi512EPK19rocblas_complex_numIdEPS1_S4_EvbbiT0_llT1_lllT2_li
	.p2align	8
	.type	_ZL20rocblas_tpmvn_kernelILi512EPK19rocblas_complex_numIdEPS1_S4_EvbbiT0_llT1_lllT2_li,@function
_ZL20rocblas_tpmvn_kernelILi512EPK19rocblas_complex_numIdEPS1_S4_EvbbiT0_llT1_lllT2_li: ; @_ZL20rocblas_tpmvn_kernelILi512EPK19rocblas_complex_numIdEPS1_S4_EvbbiT0_llT1_lllT2_li
; %bb.0:
	s_load_b32 s33, s[0:1], 0x50
	s_bfe_u32 s2, ttmp6, 0x40014
	s_lshr_b32 s3, ttmp7, 16
	s_add_co_i32 s2, s2, 1
	s_bfe_u32 s5, ttmp6, 0x40008
	s_mul_i32 s4, s3, s2
	s_getreg_b32 s2, hwreg(HW_REG_IB_STS2, 6, 4)
	s_add_co_i32 s5, s5, s4
	s_cmp_eq_u32 s2, 0
	s_mov_b32 s21, 0
	s_cselect_b32 s20, s3, s5
	s_wait_kmcnt 0x0
	s_cmp_ge_u32 s20, s33
	s_cbranch_scc1 .LBB9_21
; %bb.1:
	s_clause 0x3
	s_load_b32 s3, s[0:1], 0x0
	s_load_b64 s[22:23], s[0:1], 0x0
	s_load_b512 s[4:19], s[0:1], 0x8
	s_load_b32 s28, s[0:1], 0x64
	v_mov_b32_e32 v25, 0
	s_wait_kmcnt 0x0
	s_bitcmp1_b32 s3, 0
	s_cselect_b32 s3, -1, 0
	s_delay_alu instid0(SALU_CYCLE_1)
	s_xor_b32 s40, s3, -1
	s_bitcmp1_b32 s22, 8
	s_cselect_b32 s3, -1, 0
	s_lshl_b64 s[24:25], s[6:7], 4
	s_bfe_u32 s6, ttmp6, 0x4000c
	s_lshl_b64 s[26:27], s[12:13], 4
	s_add_co_i32 s6, s6, 1
	s_and_b32 s12, ttmp6, 15
	s_mul_i32 s6, ttmp9, s6
	s_and_b32 s7, s28, 0xffff
	s_xor_b32 s22, s3, -1
	s_add_co_i32 s12, s12, s6
	s_cmp_eq_u32 s2, 0
	s_mov_b32 s6, s23
	s_cselect_b32 s2, ttmp9, s12
	s_load_b64 s[12:13], s[0:1], 0x48
	v_mad_u32 v8, s2, s7, v0
	s_ashr_i32 s7, s23, 31
	s_add_nc_u64 s[10:11], s[10:11], s[26:27]
	v_cndmask_b32_e64 v30, 0, 1, s22
	s_add_nc_u64 s[4:5], s[4:5], s[24:25]
	s_lshl_b64 s[24:25], s[16:17], 4
	s_delay_alu instid0(VALU_DEP_2)
	v_dual_ashrrev_i32 v9, 31, v8 :: v_dual_add_nc_u32 v10, 1, v8
	v_add_nc_u32_e32 v14, 2, v8
	s_wait_xcnt 0x0
	v_cmp_gt_i32_e64 s0, s23, v8
	v_cmp_lt_i32_e64 s1, 0, v8
	v_add_nc_u64_e32 v[0:1], -1, v[8:9]
	v_ashrrev_i32_e32 v11, 31, v10
	v_mul_u64_e32 v[6:7], s[6:7], v[8:9]
	v_mul_u64_e32 v[12:13], s[14:15], v[8:9]
	v_cmp_gt_i32_e64 s2, s23, v10
	v_lshl_add_u64 v[16:17], v[8:9], 4, s[18:19]
	v_mul_u64_e32 v[2:3], s[14:15], v[10:11]
	v_mul_u64_e32 v[0:1], v[0:1], v[8:9]
	;; [unrolled: 1-line block ×3, first 2 shown]
	v_ashrrev_i32_e32 v15, 31, v14
	s_add_nc_u64 s[18:19], s[10:11], 8
	s_lshl_b64 s[14:15], s[14:15], 4
	s_delay_alu instid0(VALU_DEP_4) | instskip(NEXT) | instid1(VALU_DEP_4)
	v_lshl_add_u64 v[2:3], v[2:3], 4, s[10:11]
	v_lshrrev_b64 v[0:1], 1, v[0:1]
	s_delay_alu instid0(VALU_DEP_4) | instskip(NEXT) | instid1(VALU_DEP_3)
	v_lshrrev_b64 v[18:19], 1, v[4:5]
	v_add_nc_u64_e32 v[22:23], 8, v[2:3]
	s_delay_alu instid0(VALU_DEP_3)
	v_sub_nc_u64_e32 v[20:21], v[6:7], v[0:1]
	s_branch .LBB9_5
.LBB9_2:                                ;   in Loop: Header=BB9_5 Depth=1
	s_or_b32 exec_lo, exec_lo, s3
	s_wait_loadcnt 0x0
	s_delay_alu instid0(VALU_DEP_1) | instskip(NEXT) | instid1(VALU_DEP_3)
	v_mov_b64_e32 v[6:7], v[2:3]
	v_mov_b64_e32 v[4:5], v[0:1]
.LBB9_3:                                ;   in Loop: Header=BB9_5 Depth=1
	s_wait_kmcnt 0x0
	s_mul_u64 s[26:27], s[12:13], s[20:21]
	s_wait_loadcnt 0x0
	s_wait_xcnt 0x0
	v_lshl_add_u64 v[0:1], s[26:27], 4, v[16:17]
	global_store_b128 v[0:1], v[4:7], off
.LBB9_4:                                ;   in Loop: Header=BB9_5 Depth=1
	s_wait_xcnt 0x0
	s_or_b32 exec_lo, exec_lo, s41
	s_add_co_i32 s20, s20, 0x10000
	s_delay_alu instid0(SALU_CYCLE_1)
	s_cmp_lt_u32 s20, s33
	s_cbranch_scc0 .LBB9_21
.LBB9_5:                                ; =>This Loop Header: Depth=1
                                        ;     Child Loop BB9_11 Depth 2
                                        ;     Child Loop BB9_19 Depth 2
	s_and_saveexec_b32 s41, s0
	s_cbranch_execz .LBB9_4
; %bb.6:                                ;   in Loop: Header=BB9_5 Depth=1
	s_mul_u64 s[26:27], s[16:17], s[20:21]
	v_cmp_ne_u32_e64 s3, 1, v30
	s_lshl_b64 s[26:27], s[26:27], 4
	s_and_b32 vcc_lo, exec_lo, s40
	s_add_nc_u64 s[26:27], s[10:11], s[26:27]
	s_mov_b32 s30, -1
	v_lshl_add_u64 v[0:1], v[12:13], 4, s[26:27]
	s_mul_u64 s[26:27], s[8:9], s[20:21]
                                        ; implicit-def: $vgpr6_vgpr7
	s_delay_alu instid0(SALU_CYCLE_1)
	s_lshl_b64 s[28:29], s[26:27], 4
	s_mul_u64 s[26:27], s[24:25], s[20:21]
	global_load_b128 v[0:3], v[0:1], off
	s_add_nc_u64 s[28:29], s[4:5], s[28:29]
	s_cbranch_vccz .LBB9_14
; %bb.7:                                ;   in Loop: Header=BB9_5 Depth=1
	s_wait_loadcnt 0x0
	v_mov_b64_e32 v[4:5], v[0:1]
	v_mov_b64_e32 v[6:7], v[2:3]
	s_and_b32 vcc_lo, exec_lo, s3
	s_cbranch_vccnz .LBB9_9
; %bb.8:                                ;   in Loop: Header=BB9_5 Depth=1
	v_lshl_add_u64 v[4:5], v[20:21], 4, s[28:29]
	global_load_b128 v[26:29], v[4:5], off
	s_wait_loadcnt 0x0
	s_wait_xcnt 0x0
	v_mul_f64_e32 v[4:5], v[2:3], v[28:29]
	v_mul_f64_e32 v[6:7], v[0:1], v[28:29]
	s_delay_alu instid0(VALU_DEP_2) | instskip(NEXT) | instid1(VALU_DEP_2)
	v_fma_f64 v[4:5], v[0:1], v[26:27], -v[4:5]
	v_fmac_f64_e32 v[6:7], v[2:3], v[26:27]
.LBB9_9:                                ;   in Loop: Header=BB9_5 Depth=1
	s_wait_xcnt 0x0
	s_and_saveexec_b32 s3, s1
	s_cbranch_execz .LBB9_13
; %bb.10:                               ;   in Loop: Header=BB9_5 Depth=1
	v_mov_b32_e32 v24, v8
	s_add_nc_u64 s[30:31], s[18:19], s[26:27]
	s_mov_b64 s[34:35], 0
	s_mov_b32 s42, 0
	s_mov_b64 s[38:39], 0
	s_mov_b64 s[36:37], 0
.LBB9_11:                               ;   Parent Loop BB9_5 Depth=1
                                        ; =>  This Inner Loop Header: Depth=2
	s_delay_alu instid0(SALU_CYCLE_1) | instskip(SKIP_4) | instid1(VALU_DEP_2)
	v_add_nc_u64_e32 v[26:27], s[36:37], v[24:25]
	s_lshr_b64 s[44:45], s[34:35], 1
	s_add_nc_u64 s[36:37], s[36:37], s[6:7]
	s_add_nc_u64 s[34:35], s[34:35], s[38:39]
	v_add_nc_u32_e32 v24, -1, v24
	v_sub_nc_u64_e64 v[26:27], v[26:27], s[44:45]
	s_add_nc_u64 s[44:45], s[38:39], 2
	s_delay_alu instid0(VALU_DEP_2) | instskip(SKIP_1) | instid1(VALU_DEP_2)
	v_cmp_eq_u32_e32 vcc_lo, 0, v24
	s_mov_b64 s[38:39], s[44:45]
	v_lshl_add_u64 v[36:37], v[26:27], 4, s[28:29]
	global_load_b128 v[26:29], v25, s[30:31] offset:-8
	global_load_b128 v[32:35], v[36:37], off
	s_wait_xcnt 0x1
	s_add_nc_u64 s[30:31], s[30:31], s[14:15]
	s_or_b32 s42, vcc_lo, s42
	s_wait_loadcnt 0x0
	s_wait_xcnt 0x0
	v_mul_f64_e32 v[36:37], v[28:29], v[34:35]
	v_mul_f64_e32 v[34:35], v[26:27], v[34:35]
	s_delay_alu instid0(VALU_DEP_2) | instskip(NEXT) | instid1(VALU_DEP_2)
	v_fma_f64 v[26:27], v[26:27], v[32:33], -v[36:37]
	v_fmac_f64_e32 v[34:35], v[28:29], v[32:33]
	s_delay_alu instid0(VALU_DEP_2) | instskip(NEXT) | instid1(VALU_DEP_2)
	v_add_f64_e32 v[4:5], v[4:5], v[26:27]
	v_add_f64_e32 v[6:7], v[6:7], v[34:35]
	s_and_not1_b32 exec_lo, exec_lo, s42
	s_cbranch_execnz .LBB9_11
; %bb.12:                               ;   in Loop: Header=BB9_5 Depth=1
	s_or_b32 exec_lo, exec_lo, s42
.LBB9_13:                               ;   in Loop: Header=BB9_5 Depth=1
	s_delay_alu instid0(SALU_CYCLE_1)
	s_or_b32 exec_lo, exec_lo, s3
	s_mov_b32 s30, 0
.LBB9_14:                               ;   in Loop: Header=BB9_5 Depth=1
	s_delay_alu instid0(SALU_CYCLE_1)
	s_and_b32 vcc_lo, exec_lo, s30
	s_cbranch_vccz .LBB9_3
; %bb.15:                               ;   in Loop: Header=BB9_5 Depth=1
	s_and_not1_b32 vcc_lo, exec_lo, s22
	s_cbranch_vccnz .LBB9_17
; %bb.16:                               ;   in Loop: Header=BB9_5 Depth=1
	v_lshl_add_u64 v[4:5], v[18:19], 4, s[28:29]
	s_delay_alu instid0(VALU_DEP_1)
	v_lshl_add_u64 v[4:5], v[8:9], 4, v[4:5]
	global_load_b128 v[4:7], v[4:5], off
	s_wait_loadcnt 0x0
	v_mul_f64_e32 v[26:27], v[2:3], v[6:7]
	v_mul_f64_e32 v[6:7], v[0:1], v[6:7]
	s_wait_xcnt 0x1
	s_delay_alu instid0(VALU_DEP_2) | instskip(NEXT) | instid1(VALU_DEP_2)
	v_fma_f64 v[0:1], v[0:1], v[4:5], -v[26:27]
	v_fmac_f64_e32 v[6:7], v[2:3], v[4:5]
	s_delay_alu instid0(VALU_DEP_1)
	v_mov_b64_e32 v[2:3], v[6:7]
.LBB9_17:                               ;   in Loop: Header=BB9_5 Depth=1
	s_wait_xcnt 0x0
	s_and_saveexec_b32 s3, s2
	s_cbranch_execz .LBB9_2
; %bb.18:                               ;   in Loop: Header=BB9_5 Depth=1
	v_add_nc_u64_e32 v[6:7], s[26:27], v[22:23]
	v_mov_b64_e32 v[28:29], v[10:11]
	v_mov_b64_e32 v[26:27], v[14:15]
	v_lshl_add_u64 v[4:5], v[8:9], 4, s[28:29]
	s_mov_b32 s26, 0
.LBB9_19:                               ;   Parent Loop BB9_5 Depth=1
                                        ; =>  This Inner Loop Header: Depth=2
	s_delay_alu instid0(VALU_DEP_2) | instskip(SKIP_2) | instid1(VALU_DEP_2)
	v_mul_u64_e32 v[32:33], v[26:27], v[28:29]
	v_add_nc_u64_e32 v[28:29], 1, v[28:29]
	v_add_nc_u64_e32 v[26:27], 1, v[26:27]
	v_cmp_le_i32_e32 vcc_lo, s23, v28
	s_or_b32 s26, vcc_lo, s26
	s_delay_alu instid0(VALU_DEP_4) | instskip(NEXT) | instid1(VALU_DEP_1)
	v_lshlrev_b64_e32 v[32:33], 3, v[32:33]
	v_and_b32_e32 v32, -16, v32
	s_delay_alu instid0(VALU_DEP_1)
	v_add_nc_u64_e32 v[40:41], v[4:5], v[32:33]
	global_load_b128 v[32:35], v[6:7], off offset:-8
	global_load_b128 v[36:39], v[40:41], off
	s_wait_xcnt 0x1
	v_add_nc_u64_e32 v[6:7], s[14:15], v[6:7]
	s_wait_loadcnt 0x0
	s_wait_xcnt 0x0
	v_mul_f64_e32 v[40:41], v[34:35], v[38:39]
	v_mul_f64_e32 v[38:39], v[32:33], v[38:39]
	s_delay_alu instid0(VALU_DEP_2) | instskip(NEXT) | instid1(VALU_DEP_2)
	v_fma_f64 v[32:33], v[32:33], v[36:37], -v[40:41]
	v_fmac_f64_e32 v[38:39], v[34:35], v[36:37]
	s_delay_alu instid0(VALU_DEP_2) | instskip(NEXT) | instid1(VALU_DEP_2)
	v_add_f64_e32 v[0:1], v[0:1], v[32:33]
	v_add_f64_e32 v[2:3], v[2:3], v[38:39]
	s_and_not1_b32 exec_lo, exec_lo, s26
	s_cbranch_execnz .LBB9_19
; %bb.20:                               ;   in Loop: Header=BB9_5 Depth=1
	s_or_b32 exec_lo, exec_lo, s26
	s_branch .LBB9_2
.LBB9_21:
	s_endpgm
	.section	.rodata,"a",@progbits
	.p2align	6, 0x0
	.amdhsa_kernel _ZL20rocblas_tpmvn_kernelILi512EPK19rocblas_complex_numIdEPS1_S4_EvbbiT0_llT1_lllT2_li
		.amdhsa_group_segment_fixed_size 0
		.amdhsa_private_segment_fixed_size 0
		.amdhsa_kernarg_size 344
		.amdhsa_user_sgpr_count 2
		.amdhsa_user_sgpr_dispatch_ptr 0
		.amdhsa_user_sgpr_queue_ptr 0
		.amdhsa_user_sgpr_kernarg_segment_ptr 1
		.amdhsa_user_sgpr_dispatch_id 0
		.amdhsa_user_sgpr_kernarg_preload_length 0
		.amdhsa_user_sgpr_kernarg_preload_offset 0
		.amdhsa_user_sgpr_private_segment_size 0
		.amdhsa_wavefront_size32 1
		.amdhsa_uses_dynamic_stack 0
		.amdhsa_enable_private_segment 0
		.amdhsa_system_sgpr_workgroup_id_x 1
		.amdhsa_system_sgpr_workgroup_id_y 0
		.amdhsa_system_sgpr_workgroup_id_z 1
		.amdhsa_system_sgpr_workgroup_info 0
		.amdhsa_system_vgpr_workitem_id 0
		.amdhsa_next_free_vgpr 42
		.amdhsa_next_free_sgpr 46
		.amdhsa_named_barrier_count 0
		.amdhsa_reserve_vcc 1
		.amdhsa_float_round_mode_32 0
		.amdhsa_float_round_mode_16_64 0
		.amdhsa_float_denorm_mode_32 3
		.amdhsa_float_denorm_mode_16_64 3
		.amdhsa_fp16_overflow 0
		.amdhsa_memory_ordered 1
		.amdhsa_forward_progress 1
		.amdhsa_inst_pref_size 9
		.amdhsa_round_robin_scheduling 0
		.amdhsa_exception_fp_ieee_invalid_op 0
		.amdhsa_exception_fp_denorm_src 0
		.amdhsa_exception_fp_ieee_div_zero 0
		.amdhsa_exception_fp_ieee_overflow 0
		.amdhsa_exception_fp_ieee_underflow 0
		.amdhsa_exception_fp_ieee_inexact 0
		.amdhsa_exception_int_div_zero 0
	.end_amdhsa_kernel
	.section	.text._ZL20rocblas_tpmvn_kernelILi512EPK19rocblas_complex_numIdEPS1_S4_EvbbiT0_llT1_lllT2_li,"axG",@progbits,_ZL20rocblas_tpmvn_kernelILi512EPK19rocblas_complex_numIdEPS1_S4_EvbbiT0_llT1_lllT2_li,comdat
.Lfunc_end9:
	.size	_ZL20rocblas_tpmvn_kernelILi512EPK19rocblas_complex_numIdEPS1_S4_EvbbiT0_llT1_lllT2_li, .Lfunc_end9-_ZL20rocblas_tpmvn_kernelILi512EPK19rocblas_complex_numIdEPS1_S4_EvbbiT0_llT1_lllT2_li
                                        ; -- End function
	.set _ZL20rocblas_tpmvn_kernelILi512EPK19rocblas_complex_numIdEPS1_S4_EvbbiT0_llT1_lllT2_li.num_vgpr, 42
	.set _ZL20rocblas_tpmvn_kernelILi512EPK19rocblas_complex_numIdEPS1_S4_EvbbiT0_llT1_lllT2_li.num_agpr, 0
	.set _ZL20rocblas_tpmvn_kernelILi512EPK19rocblas_complex_numIdEPS1_S4_EvbbiT0_llT1_lllT2_li.numbered_sgpr, 46
	.set _ZL20rocblas_tpmvn_kernelILi512EPK19rocblas_complex_numIdEPS1_S4_EvbbiT0_llT1_lllT2_li.num_named_barrier, 0
	.set _ZL20rocblas_tpmvn_kernelILi512EPK19rocblas_complex_numIdEPS1_S4_EvbbiT0_llT1_lllT2_li.private_seg_size, 0
	.set _ZL20rocblas_tpmvn_kernelILi512EPK19rocblas_complex_numIdEPS1_S4_EvbbiT0_llT1_lllT2_li.uses_vcc, 1
	.set _ZL20rocblas_tpmvn_kernelILi512EPK19rocblas_complex_numIdEPS1_S4_EvbbiT0_llT1_lllT2_li.uses_flat_scratch, 0
	.set _ZL20rocblas_tpmvn_kernelILi512EPK19rocblas_complex_numIdEPS1_S4_EvbbiT0_llT1_lllT2_li.has_dyn_sized_stack, 0
	.set _ZL20rocblas_tpmvn_kernelILi512EPK19rocblas_complex_numIdEPS1_S4_EvbbiT0_llT1_lllT2_li.has_recursion, 0
	.set _ZL20rocblas_tpmvn_kernelILi512EPK19rocblas_complex_numIdEPS1_S4_EvbbiT0_llT1_lllT2_li.has_indirect_call, 0
	.section	.AMDGPU.csdata,"",@progbits
; Kernel info:
; codeLenInByte = 1076
; TotalNumSgprs: 48
; NumVgprs: 42
; ScratchSize: 0
; MemoryBound: 0
; FloatMode: 240
; IeeeMode: 1
; LDSByteSize: 0 bytes/workgroup (compile time only)
; SGPRBlocks: 0
; VGPRBlocks: 2
; NumSGPRsForWavesPerEU: 48
; NumVGPRsForWavesPerEU: 42
; NamedBarCnt: 0
; Occupancy: 16
; WaveLimiterHint : 0
; COMPUTE_PGM_RSRC2:SCRATCH_EN: 0
; COMPUTE_PGM_RSRC2:USER_SGPR: 2
; COMPUTE_PGM_RSRC2:TRAP_HANDLER: 0
; COMPUTE_PGM_RSRC2:TGID_X_EN: 1
; COMPUTE_PGM_RSRC2:TGID_Y_EN: 0
; COMPUTE_PGM_RSRC2:TGID_Z_EN: 1
; COMPUTE_PGM_RSRC2:TIDIG_COMP_CNT: 0
	.section	.text._ZL20rocblas_tpmvt_kernelILi512EPK19rocblas_complex_numIdEPS1_S4_EvbbiT0_llT1_lllT2_li,"axG",@progbits,_ZL20rocblas_tpmvt_kernelILi512EPK19rocblas_complex_numIdEPS1_S4_EvbbiT0_llT1_lllT2_li,comdat
	.globl	_ZL20rocblas_tpmvt_kernelILi512EPK19rocblas_complex_numIdEPS1_S4_EvbbiT0_llT1_lllT2_li ; -- Begin function _ZL20rocblas_tpmvt_kernelILi512EPK19rocblas_complex_numIdEPS1_S4_EvbbiT0_llT1_lllT2_li
	.p2align	8
	.type	_ZL20rocblas_tpmvt_kernelILi512EPK19rocblas_complex_numIdEPS1_S4_EvbbiT0_llT1_lllT2_li,@function
_ZL20rocblas_tpmvt_kernelILi512EPK19rocblas_complex_numIdEPS1_S4_EvbbiT0_llT1_lllT2_li: ; @_ZL20rocblas_tpmvt_kernelILi512EPK19rocblas_complex_numIdEPS1_S4_EvbbiT0_llT1_lllT2_li
; %bb.0:
	s_load_b32 s33, s[0:1], 0x50
	s_bfe_u32 s2, ttmp6, 0x40014
	s_lshr_b32 s3, ttmp7, 16
	s_add_co_i32 s2, s2, 1
	s_bfe_u32 s5, ttmp6, 0x40008
	s_mul_i32 s4, s3, s2
	s_getreg_b32 s2, hwreg(HW_REG_IB_STS2, 6, 4)
	s_add_co_i32 s5, s5, s4
	s_cmp_eq_u32 s2, 0
	s_mov_b32 s21, 0
	s_cselect_b32 s20, s3, s5
	s_wait_kmcnt 0x0
	s_cmp_ge_u32 s20, s33
	s_cbranch_scc1 .LBB10_21
; %bb.1:
	s_clause 0x3
	s_load_b32 s3, s[0:1], 0x0
	s_load_b64 s[22:23], s[0:1], 0x0
	s_load_b512 s[4:19], s[0:1], 0x8
	s_load_b32 s28, s[0:1], 0x64
	s_wait_kmcnt 0x0
	s_bitcmp1_b32 s3, 0
	s_cselect_b32 s3, -1, 0
	s_delay_alu instid0(SALU_CYCLE_1)
	s_xor_b32 s34, s3, -1
	s_bitcmp1_b32 s22, 8
	s_cselect_b32 s3, -1, 0
	s_lshl_b64 s[24:25], s[6:7], 4
	s_bfe_u32 s6, ttmp6, 0x4000c
	s_lshl_b64 s[26:27], s[12:13], 4
	s_add_co_i32 s6, s6, 1
	s_and_b32 s12, ttmp6, 15
	s_mul_i32 s6, ttmp9, s6
	s_and_b32 s7, s28, 0xffff
	s_xor_b32 s22, s3, -1
	s_add_co_i32 s12, s12, s6
	s_cmp_eq_u32 s2, 0
	s_add_nc_u64 s[10:11], s[10:11], s[26:27]
	s_cselect_b32 s2, ttmp9, s12
	s_ashr_i32 s3, s23, 31
	v_mad_u32 v8, s2, s7, v0
	s_mov_b32 s2, s23
	s_add_nc_u64 s[12:13], s[4:5], s[24:25]
	s_lshl_b64 s[6:7], s[2:3], 4
	s_delay_alu instid0(SALU_CYCLE_1) | instskip(NEXT) | instid1(VALU_DEP_1)
	s_add_nc_u64 s[6:7], s[6:7], -16
	v_dual_ashrrev_i32 v9, 31, v8 :: v_dual_add_nc_u32 v10, 1, v8
	v_mov_b32_e32 v13, 0
	v_mad_nc_u64_u32 v[2:3], s6, v8, s[24:25]
	s_add_nc_u64 s[24:25], s[10:11], 8
	s_delay_alu instid0(VALU_DEP_3) | instskip(SKIP_4) | instid1(VALU_DEP_4)
	v_add_nc_u64_e32 v[0:1], -1, v[8:9]
	v_mov_b32_e32 v12, v10
	v_mul_u64_e32 v[22:23], s[2:3], v[8:9]
	v_mul_u64_e32 v[14:15], s[14:15], v[8:9]
	v_cmp_gt_i32_e64 s2, s23, v10
	v_mul_u64_e32 v[4:5], v[12:13], v[8:9]
	v_mul_u64_e32 v[0:1], v[0:1], v[8:9]
	v_mad_u32 v3, s7, v8, v3
	s_delay_alu instid0(VALU_DEP_1)
	v_mad_u32 v3, s6, v9, v3
	s_load_b64 s[6:7], s[0:1], 0x48
	s_wait_xcnt 0x0
	v_cmp_gt_i32_e64 s0, s23, v8
	v_cmp_lt_i32_e64 s1, 0, v8
	v_lshlrev_b64_e32 v[4:5], 3, v[4:5]
	v_ashrrev_i32_e32 v11, 31, v10
	v_lshrrev_b64 v[0:1], 1, v[0:1]
	s_delay_alu instid0(VALU_DEP_3) | instskip(NEXT) | instid1(VALU_DEP_3)
	v_and_b32_e32 v4, -16, v4
	v_mul_u64_e32 v[6:7], s[14:15], v[10:11]
	v_mul_u64_e32 v[18:19], v[10:11], v[8:9]
	s_delay_alu instid0(VALU_DEP_4)
	v_lshlrev_b64_e32 v[16:17], 4, v[0:1]
	v_lshl_add_u64 v[2:3], v[10:11], 4, v[2:3]
	v_add_nc_u64_e32 v[4:5], s[12:13], v[4:5]
	v_sub_nc_u64_e32 v[22:23], v[22:23], v[0:1]
	v_cndmask_b32_e64 v11, 0, 1, s22
	s_lshl_b64 s[14:15], s[14:15], 4
	v_sub_nc_u64_e32 v[2:3], v[2:3], v[16:17]
	v_lshl_add_u64 v[16:17], v[8:9], 4, s[18:19]
	v_add_nc_u64_e32 v[26:27], 8, v[4:5]
	s_lshl_b64 s[18:19], s[16:17], 4
	s_delay_alu instid0(VALU_DEP_3) | instskip(NEXT) | instid1(VALU_DEP_1)
	v_or_b32_e32 v2, 8, v2
	v_add_nc_u64_e32 v[24:25], s[4:5], v[2:3]
	s_lshl_b64 s[4:5], s[8:9], 4
	v_lshl_add_u64 v[6:7], v[6:7], 4, s[10:11]
	v_lshrrev_b64 v[18:19], 1, v[18:19]
	s_delay_alu instid0(VALU_DEP_2)
	v_add_nc_u64_e32 v[20:21], 8, v[6:7]
	s_branch .LBB10_5
.LBB10_2:                               ;   in Loop: Header=BB10_5 Depth=1
	s_or_b32 exec_lo, exec_lo, s3
	s_wait_loadcnt 0x0
	s_delay_alu instid0(VALU_DEP_1) | instskip(NEXT) | instid1(VALU_DEP_3)
	v_mov_b64_e32 v[6:7], v[2:3]
	v_mov_b64_e32 v[4:5], v[0:1]
.LBB10_3:                               ;   in Loop: Header=BB10_5 Depth=1
	s_wait_kmcnt 0x0
	s_mul_u64 s[26:27], s[6:7], s[20:21]
	s_wait_loadcnt 0x0
	s_wait_xcnt 0x0
	v_lshl_add_u64 v[0:1], s[26:27], 4, v[16:17]
	global_store_b128 v[0:1], v[4:7], off
.LBB10_4:                               ;   in Loop: Header=BB10_5 Depth=1
	s_wait_xcnt 0x0
	s_or_b32 exec_lo, exec_lo, s35
	s_add_co_i32 s20, s20, 0x10000
	s_delay_alu instid0(SALU_CYCLE_1)
	s_cmp_lt_u32 s20, s33
	s_cbranch_scc0 .LBB10_21
.LBB10_5:                               ; =>This Loop Header: Depth=1
                                        ;     Child Loop BB10_11 Depth 2
                                        ;     Child Loop BB10_19 Depth 2
	s_and_saveexec_b32 s35, s0
	s_cbranch_execz .LBB10_4
; %bb.6:                                ;   in Loop: Header=BB10_5 Depth=1
	s_mul_u64 s[26:27], s[16:17], s[20:21]
	s_mul_u64 s[28:29], s[8:9], s[20:21]
	s_lshl_b64 s[26:27], s[26:27], 4
	v_cmp_ne_u32_e64 s3, 1, v11
	s_add_nc_u64 s[26:27], s[10:11], s[26:27]
	s_lshl_b64 s[30:31], s[28:29], 4
	v_lshl_add_u64 v[0:1], v[14:15], 4, s[26:27]
	s_mul_u64 s[26:27], s[18:19], s[20:21]
	s_mul_u64 s[28:29], s[4:5], s[20:21]
	s_add_nc_u64 s[30:31], s[12:13], s[30:31]
	s_and_b32 vcc_lo, exec_lo, s34
	global_load_b128 v[0:3], v[0:1], off
	s_mov_b32 s36, -1
                                        ; implicit-def: $vgpr6_vgpr7
	s_cbranch_vccz .LBB10_14
; %bb.7:                                ;   in Loop: Header=BB10_5 Depth=1
	s_wait_loadcnt 0x0
	v_mov_b64_e32 v[4:5], v[0:1]
	v_mov_b64_e32 v[6:7], v[2:3]
	s_and_b32 vcc_lo, exec_lo, s3
	s_cbranch_vccnz .LBB10_9
; %bb.8:                                ;   in Loop: Header=BB10_5 Depth=1
	v_lshl_add_u64 v[4:5], v[22:23], 4, s[30:31]
	global_load_b128 v[28:31], v[4:5], off
	s_wait_loadcnt 0x0
	s_wait_xcnt 0x0
	v_mul_f64_e32 v[4:5], v[2:3], v[30:31]
	v_mul_f64_e32 v[6:7], v[0:1], v[30:31]
	s_delay_alu instid0(VALU_DEP_2) | instskip(NEXT) | instid1(VALU_DEP_2)
	v_fma_f64 v[4:5], v[0:1], v[28:29], -v[4:5]
	v_fmac_f64_e32 v[6:7], v[2:3], v[28:29]
.LBB10_9:                               ;   in Loop: Header=BB10_5 Depth=1
	s_wait_xcnt 0x0
	s_and_saveexec_b32 s3, s2
	s_cbranch_execz .LBB10_13
; %bb.10:                               ;   in Loop: Header=BB10_5 Depth=1
	v_add_nc_u64_e32 v[28:29], s[28:29], v[24:25]
	v_add_nc_u64_e32 v[30:31], s[26:27], v[20:21]
	v_mov_b32_e32 v12, v10
	s_mov_b32 s36, 0
.LBB10_11:                              ;   Parent Loop BB10_5 Depth=1
                                        ; =>  This Inner Loop Header: Depth=2
	global_load_b128 v[32:35], v[30:31], off offset:-8
	global_load_b128 v[36:39], v[28:29], off offset:-8
	s_wait_xcnt 0x0
	v_add_nc_u64_e32 v[28:29], 16, v[28:29]
	v_add_nc_u64_e32 v[30:31], s[14:15], v[30:31]
	v_add_nc_u32_e32 v12, 1, v12
	s_delay_alu instid0(VALU_DEP_1) | instskip(SKIP_4) | instid1(VALU_DEP_2)
	v_cmp_le_i32_e32 vcc_lo, s23, v12
	s_or_b32 s36, vcc_lo, s36
	s_wait_loadcnt 0x0
	v_mul_f64_e32 v[40:41], v[34:35], v[38:39]
	v_mul_f64_e32 v[38:39], v[32:33], v[38:39]
	v_fma_f64 v[32:33], v[32:33], v[36:37], -v[40:41]
	s_delay_alu instid0(VALU_DEP_2) | instskip(NEXT) | instid1(VALU_DEP_2)
	v_fmac_f64_e32 v[38:39], v[34:35], v[36:37]
	v_add_f64_e32 v[4:5], v[4:5], v[32:33]
	s_delay_alu instid0(VALU_DEP_2)
	v_add_f64_e32 v[6:7], v[6:7], v[38:39]
	s_and_not1_b32 exec_lo, exec_lo, s36
	s_cbranch_execnz .LBB10_11
; %bb.12:                               ;   in Loop: Header=BB10_5 Depth=1
	s_or_b32 exec_lo, exec_lo, s36
.LBB10_13:                              ;   in Loop: Header=BB10_5 Depth=1
	s_delay_alu instid0(SALU_CYCLE_1)
	s_or_b32 exec_lo, exec_lo, s3
	s_mov_b32 s36, 0
.LBB10_14:                              ;   in Loop: Header=BB10_5 Depth=1
	s_delay_alu instid0(SALU_CYCLE_1)
	s_and_b32 vcc_lo, exec_lo, s36
	s_cbranch_vccz .LBB10_3
; %bb.15:                               ;   in Loop: Header=BB10_5 Depth=1
	s_and_not1_b32 vcc_lo, exec_lo, s22
	s_cbranch_vccnz .LBB10_17
; %bb.16:                               ;   in Loop: Header=BB10_5 Depth=1
	v_lshl_add_u64 v[4:5], v[18:19], 4, s[30:31]
	s_delay_alu instid0(VALU_DEP_1)
	v_lshl_add_u64 v[4:5], v[8:9], 4, v[4:5]
	global_load_b128 v[4:7], v[4:5], off
	s_wait_loadcnt 0x0
	v_mul_f64_e32 v[28:29], v[2:3], v[6:7]
	v_mul_f64_e32 v[6:7], v[0:1], v[6:7]
	s_wait_xcnt 0x1
	s_delay_alu instid0(VALU_DEP_2) | instskip(NEXT) | instid1(VALU_DEP_2)
	v_fma_f64 v[0:1], v[0:1], v[4:5], -v[28:29]
	v_fmac_f64_e32 v[6:7], v[2:3], v[4:5]
	s_delay_alu instid0(VALU_DEP_1)
	v_mov_b64_e32 v[2:3], v[6:7]
.LBB10_17:                              ;   in Loop: Header=BB10_5 Depth=1
	s_wait_xcnt 0x0
	s_and_saveexec_b32 s3, s1
	s_cbranch_execz .LBB10_2
; %bb.18:                               ;   in Loop: Header=BB10_5 Depth=1
	v_add_nc_u64_e32 v[4:5], s[28:29], v[26:27]
	v_mov_b32_e32 v6, v8
	s_add_nc_u64 s[26:27], s[24:25], s[26:27]
	s_mov_b32 s28, 0
.LBB10_19:                              ;   Parent Loop BB10_5 Depth=1
                                        ; =>  This Inner Loop Header: Depth=2
	global_load_b128 v[28:31], v13, s[26:27] offset:-8
	global_load_b128 v[32:35], v[4:5], off offset:-8
	s_wait_xcnt 0x0
	v_add_nc_u64_e32 v[4:5], 16, v[4:5]
	s_add_nc_u64 s[26:27], s[26:27], s[14:15]
	v_add_nc_u32_e32 v6, -1, v6
	s_delay_alu instid0(VALU_DEP_1) | instskip(SKIP_4) | instid1(VALU_DEP_2)
	v_cmp_eq_u32_e32 vcc_lo, 0, v6
	s_or_b32 s28, vcc_lo, s28
	s_wait_loadcnt 0x0
	v_mul_f64_e32 v[36:37], v[30:31], v[34:35]
	v_mul_f64_e32 v[34:35], v[28:29], v[34:35]
	v_fma_f64 v[28:29], v[28:29], v[32:33], -v[36:37]
	s_delay_alu instid0(VALU_DEP_2) | instskip(NEXT) | instid1(VALU_DEP_2)
	v_fmac_f64_e32 v[34:35], v[30:31], v[32:33]
	v_add_f64_e32 v[0:1], v[0:1], v[28:29]
	s_delay_alu instid0(VALU_DEP_2)
	v_add_f64_e32 v[2:3], v[2:3], v[34:35]
	s_and_not1_b32 exec_lo, exec_lo, s28
	s_cbranch_execnz .LBB10_19
; %bb.20:                               ;   in Loop: Header=BB10_5 Depth=1
	s_or_b32 exec_lo, exec_lo, s28
	s_branch .LBB10_2
.LBB10_21:
	s_endpgm
	.section	.rodata,"a",@progbits
	.p2align	6, 0x0
	.amdhsa_kernel _ZL20rocblas_tpmvt_kernelILi512EPK19rocblas_complex_numIdEPS1_S4_EvbbiT0_llT1_lllT2_li
		.amdhsa_group_segment_fixed_size 0
		.amdhsa_private_segment_fixed_size 0
		.amdhsa_kernarg_size 344
		.amdhsa_user_sgpr_count 2
		.amdhsa_user_sgpr_dispatch_ptr 0
		.amdhsa_user_sgpr_queue_ptr 0
		.amdhsa_user_sgpr_kernarg_segment_ptr 1
		.amdhsa_user_sgpr_dispatch_id 0
		.amdhsa_user_sgpr_kernarg_preload_length 0
		.amdhsa_user_sgpr_kernarg_preload_offset 0
		.amdhsa_user_sgpr_private_segment_size 0
		.amdhsa_wavefront_size32 1
		.amdhsa_uses_dynamic_stack 0
		.amdhsa_enable_private_segment 0
		.amdhsa_system_sgpr_workgroup_id_x 1
		.amdhsa_system_sgpr_workgroup_id_y 0
		.amdhsa_system_sgpr_workgroup_id_z 1
		.amdhsa_system_sgpr_workgroup_info 0
		.amdhsa_system_vgpr_workitem_id 0
		.amdhsa_next_free_vgpr 42
		.amdhsa_next_free_sgpr 37
		.amdhsa_named_barrier_count 0
		.amdhsa_reserve_vcc 1
		.amdhsa_float_round_mode_32 0
		.amdhsa_float_round_mode_16_64 0
		.amdhsa_float_denorm_mode_32 3
		.amdhsa_float_denorm_mode_16_64 3
		.amdhsa_fp16_overflow 0
		.amdhsa_memory_ordered 1
		.amdhsa_forward_progress 1
		.amdhsa_inst_pref_size 9
		.amdhsa_round_robin_scheduling 0
		.amdhsa_exception_fp_ieee_invalid_op 0
		.amdhsa_exception_fp_denorm_src 0
		.amdhsa_exception_fp_ieee_div_zero 0
		.amdhsa_exception_fp_ieee_overflow 0
		.amdhsa_exception_fp_ieee_underflow 0
		.amdhsa_exception_fp_ieee_inexact 0
		.amdhsa_exception_int_div_zero 0
	.end_amdhsa_kernel
	.section	.text._ZL20rocblas_tpmvt_kernelILi512EPK19rocblas_complex_numIdEPS1_S4_EvbbiT0_llT1_lllT2_li,"axG",@progbits,_ZL20rocblas_tpmvt_kernelILi512EPK19rocblas_complex_numIdEPS1_S4_EvbbiT0_llT1_lllT2_li,comdat
.Lfunc_end10:
	.size	_ZL20rocblas_tpmvt_kernelILi512EPK19rocblas_complex_numIdEPS1_S4_EvbbiT0_llT1_lllT2_li, .Lfunc_end10-_ZL20rocblas_tpmvt_kernelILi512EPK19rocblas_complex_numIdEPS1_S4_EvbbiT0_llT1_lllT2_li
                                        ; -- End function
	.set _ZL20rocblas_tpmvt_kernelILi512EPK19rocblas_complex_numIdEPS1_S4_EvbbiT0_llT1_lllT2_li.num_vgpr, 42
	.set _ZL20rocblas_tpmvt_kernelILi512EPK19rocblas_complex_numIdEPS1_S4_EvbbiT0_llT1_lllT2_li.num_agpr, 0
	.set _ZL20rocblas_tpmvt_kernelILi512EPK19rocblas_complex_numIdEPS1_S4_EvbbiT0_llT1_lllT2_li.numbered_sgpr, 37
	.set _ZL20rocblas_tpmvt_kernelILi512EPK19rocblas_complex_numIdEPS1_S4_EvbbiT0_llT1_lllT2_li.num_named_barrier, 0
	.set _ZL20rocblas_tpmvt_kernelILi512EPK19rocblas_complex_numIdEPS1_S4_EvbbiT0_llT1_lllT2_li.private_seg_size, 0
	.set _ZL20rocblas_tpmvt_kernelILi512EPK19rocblas_complex_numIdEPS1_S4_EvbbiT0_llT1_lllT2_li.uses_vcc, 1
	.set _ZL20rocblas_tpmvt_kernelILi512EPK19rocblas_complex_numIdEPS1_S4_EvbbiT0_llT1_lllT2_li.uses_flat_scratch, 0
	.set _ZL20rocblas_tpmvt_kernelILi512EPK19rocblas_complex_numIdEPS1_S4_EvbbiT0_llT1_lllT2_li.has_dyn_sized_stack, 0
	.set _ZL20rocblas_tpmvt_kernelILi512EPK19rocblas_complex_numIdEPS1_S4_EvbbiT0_llT1_lllT2_li.has_recursion, 0
	.set _ZL20rocblas_tpmvt_kernelILi512EPK19rocblas_complex_numIdEPS1_S4_EvbbiT0_llT1_lllT2_li.has_indirect_call, 0
	.section	.AMDGPU.csdata,"",@progbits
; Kernel info:
; codeLenInByte = 1076
; TotalNumSgprs: 39
; NumVgprs: 42
; ScratchSize: 0
; MemoryBound: 0
; FloatMode: 240
; IeeeMode: 1
; LDSByteSize: 0 bytes/workgroup (compile time only)
; SGPRBlocks: 0
; VGPRBlocks: 2
; NumSGPRsForWavesPerEU: 39
; NumVGPRsForWavesPerEU: 42
; NamedBarCnt: 0
; Occupancy: 16
; WaveLimiterHint : 0
; COMPUTE_PGM_RSRC2:SCRATCH_EN: 0
; COMPUTE_PGM_RSRC2:USER_SGPR: 2
; COMPUTE_PGM_RSRC2:TRAP_HANDLER: 0
; COMPUTE_PGM_RSRC2:TGID_X_EN: 1
; COMPUTE_PGM_RSRC2:TGID_Y_EN: 0
; COMPUTE_PGM_RSRC2:TGID_Z_EN: 1
; COMPUTE_PGM_RSRC2:TIDIG_COMP_CNT: 0
	.section	.text._ZL20rocblas_tpmvc_kernelILi512EPK19rocblas_complex_numIdEPS1_S4_EvbbiT0_llT1_lllT2_li,"axG",@progbits,_ZL20rocblas_tpmvc_kernelILi512EPK19rocblas_complex_numIdEPS1_S4_EvbbiT0_llT1_lllT2_li,comdat
	.globl	_ZL20rocblas_tpmvc_kernelILi512EPK19rocblas_complex_numIdEPS1_S4_EvbbiT0_llT1_lllT2_li ; -- Begin function _ZL20rocblas_tpmvc_kernelILi512EPK19rocblas_complex_numIdEPS1_S4_EvbbiT0_llT1_lllT2_li
	.p2align	8
	.type	_ZL20rocblas_tpmvc_kernelILi512EPK19rocblas_complex_numIdEPS1_S4_EvbbiT0_llT1_lllT2_li,@function
_ZL20rocblas_tpmvc_kernelILi512EPK19rocblas_complex_numIdEPS1_S4_EvbbiT0_llT1_lllT2_li: ; @_ZL20rocblas_tpmvc_kernelILi512EPK19rocblas_complex_numIdEPS1_S4_EvbbiT0_llT1_lllT2_li
; %bb.0:
	s_load_b32 s33, s[0:1], 0x50
	s_bfe_u32 s2, ttmp6, 0x40014
	s_lshr_b32 s3, ttmp7, 16
	s_add_co_i32 s2, s2, 1
	s_bfe_u32 s5, ttmp6, 0x40008
	s_mul_i32 s4, s3, s2
	s_getreg_b32 s2, hwreg(HW_REG_IB_STS2, 6, 4)
	s_add_co_i32 s5, s5, s4
	s_cmp_eq_u32 s2, 0
	s_mov_b32 s21, 0
	s_cselect_b32 s20, s3, s5
	s_wait_kmcnt 0x0
	s_cmp_ge_u32 s20, s33
	s_cbranch_scc1 .LBB11_21
; %bb.1:
	s_clause 0x3
	s_load_b32 s3, s[0:1], 0x0
	s_load_b64 s[22:23], s[0:1], 0x0
	s_load_b512 s[4:19], s[0:1], 0x8
	s_load_b32 s28, s[0:1], 0x64
	s_wait_kmcnt 0x0
	s_bitcmp1_b32 s3, 0
	s_cselect_b32 s3, -1, 0
	s_delay_alu instid0(SALU_CYCLE_1)
	s_xor_b32 s34, s3, -1
	s_bitcmp1_b32 s22, 8
	s_cselect_b32 s3, -1, 0
	s_lshl_b64 s[24:25], s[6:7], 4
	s_bfe_u32 s6, ttmp6, 0x4000c
	s_lshl_b64 s[26:27], s[12:13], 4
	s_add_co_i32 s6, s6, 1
	s_and_b32 s12, ttmp6, 15
	s_mul_i32 s6, ttmp9, s6
	s_and_b32 s7, s28, 0xffff
	s_xor_b32 s22, s3, -1
	s_add_co_i32 s12, s12, s6
	s_cmp_eq_u32 s2, 0
	s_add_nc_u64 s[10:11], s[10:11], s[26:27]
	s_cselect_b32 s2, ttmp9, s12
	s_ashr_i32 s3, s23, 31
	v_mad_u32 v8, s2, s7, v0
	s_mov_b32 s2, s23
	s_add_nc_u64 s[12:13], s[4:5], s[24:25]
	s_lshl_b64 s[6:7], s[2:3], 4
	s_delay_alu instid0(SALU_CYCLE_1) | instskip(NEXT) | instid1(VALU_DEP_1)
	s_add_nc_u64 s[6:7], s[6:7], -16
	v_dual_ashrrev_i32 v9, 31, v8 :: v_dual_add_nc_u32 v10, 1, v8
	v_mov_b32_e32 v13, 0
	v_mad_nc_u64_u32 v[2:3], s6, v8, s[24:25]
	s_add_nc_u64 s[24:25], s[10:11], 8
	s_delay_alu instid0(VALU_DEP_3) | instskip(SKIP_4) | instid1(VALU_DEP_4)
	v_add_nc_u64_e32 v[0:1], -1, v[8:9]
	v_mov_b32_e32 v12, v10
	v_mul_u64_e32 v[22:23], s[2:3], v[8:9]
	v_mul_u64_e32 v[14:15], s[14:15], v[8:9]
	v_cmp_gt_i32_e64 s2, s23, v10
	v_mul_u64_e32 v[4:5], v[12:13], v[8:9]
	v_mul_u64_e32 v[0:1], v[0:1], v[8:9]
	v_mad_u32 v3, s7, v8, v3
	s_delay_alu instid0(VALU_DEP_1)
	v_mad_u32 v3, s6, v9, v3
	s_load_b64 s[6:7], s[0:1], 0x48
	s_wait_xcnt 0x0
	v_cmp_gt_i32_e64 s0, s23, v8
	v_cmp_lt_i32_e64 s1, 0, v8
	v_lshlrev_b64_e32 v[4:5], 3, v[4:5]
	v_ashrrev_i32_e32 v11, 31, v10
	v_lshrrev_b64 v[0:1], 1, v[0:1]
	s_delay_alu instid0(VALU_DEP_3) | instskip(NEXT) | instid1(VALU_DEP_3)
	v_and_b32_e32 v4, -16, v4
	v_mul_u64_e32 v[6:7], s[14:15], v[10:11]
	v_mul_u64_e32 v[18:19], v[10:11], v[8:9]
	s_delay_alu instid0(VALU_DEP_4)
	v_lshlrev_b64_e32 v[16:17], 4, v[0:1]
	v_lshl_add_u64 v[2:3], v[10:11], 4, v[2:3]
	v_add_nc_u64_e32 v[4:5], s[12:13], v[4:5]
	v_sub_nc_u64_e32 v[22:23], v[22:23], v[0:1]
	v_cndmask_b32_e64 v11, 0, 1, s22
	s_lshl_b64 s[14:15], s[14:15], 4
	v_sub_nc_u64_e32 v[2:3], v[2:3], v[16:17]
	v_lshl_add_u64 v[16:17], v[8:9], 4, s[18:19]
	v_add_nc_u64_e32 v[26:27], 8, v[4:5]
	s_lshl_b64 s[18:19], s[16:17], 4
	s_delay_alu instid0(VALU_DEP_3) | instskip(NEXT) | instid1(VALU_DEP_1)
	v_or_b32_e32 v2, 8, v2
	v_add_nc_u64_e32 v[24:25], s[4:5], v[2:3]
	s_lshl_b64 s[4:5], s[8:9], 4
	v_lshl_add_u64 v[6:7], v[6:7], 4, s[10:11]
	v_lshrrev_b64 v[18:19], 1, v[18:19]
	s_delay_alu instid0(VALU_DEP_2)
	v_add_nc_u64_e32 v[20:21], 8, v[6:7]
	s_branch .LBB11_5
.LBB11_2:                               ;   in Loop: Header=BB11_5 Depth=1
	s_or_b32 exec_lo, exec_lo, s3
	s_wait_loadcnt 0x0
	s_delay_alu instid0(VALU_DEP_1) | instskip(NEXT) | instid1(VALU_DEP_2)
	v_mov_b64_e32 v[6:7], v[2:3]
	v_mov_b64_e32 v[4:5], v[0:1]
.LBB11_3:                               ;   in Loop: Header=BB11_5 Depth=1
	s_wait_kmcnt 0x0
	s_mul_u64 s[26:27], s[6:7], s[20:21]
	s_wait_loadcnt 0x0
	s_wait_xcnt 0x0
	v_lshl_add_u64 v[0:1], s[26:27], 4, v[16:17]
	global_store_b128 v[0:1], v[4:7], off
.LBB11_4:                               ;   in Loop: Header=BB11_5 Depth=1
	s_wait_xcnt 0x0
	s_or_b32 exec_lo, exec_lo, s35
	s_add_co_i32 s20, s20, 0x10000
	s_delay_alu instid0(SALU_CYCLE_1)
	s_cmp_lt_u32 s20, s33
	s_cbranch_scc0 .LBB11_21
.LBB11_5:                               ; =>This Loop Header: Depth=1
                                        ;     Child Loop BB11_11 Depth 2
                                        ;     Child Loop BB11_19 Depth 2
	s_and_saveexec_b32 s35, s0
	s_cbranch_execz .LBB11_4
; %bb.6:                                ;   in Loop: Header=BB11_5 Depth=1
	s_mul_u64 s[26:27], s[16:17], s[20:21]
	s_mul_u64 s[28:29], s[8:9], s[20:21]
	s_lshl_b64 s[26:27], s[26:27], 4
	v_cmp_ne_u32_e64 s3, 1, v11
	s_add_nc_u64 s[26:27], s[10:11], s[26:27]
	s_lshl_b64 s[30:31], s[28:29], 4
	v_lshl_add_u64 v[0:1], v[14:15], 4, s[26:27]
	s_mul_u64 s[26:27], s[18:19], s[20:21]
	s_mul_u64 s[28:29], s[4:5], s[20:21]
	s_add_nc_u64 s[30:31], s[12:13], s[30:31]
	s_and_b32 vcc_lo, exec_lo, s34
	global_load_b128 v[0:3], v[0:1], off
	s_mov_b32 s36, -1
                                        ; implicit-def: $vgpr6_vgpr7
	s_cbranch_vccz .LBB11_14
; %bb.7:                                ;   in Loop: Header=BB11_5 Depth=1
	s_wait_loadcnt 0x0
	v_mov_b64_e32 v[4:5], v[0:1]
	v_mov_b64_e32 v[6:7], v[2:3]
	s_and_b32 vcc_lo, exec_lo, s3
	s_cbranch_vccnz .LBB11_9
; %bb.8:                                ;   in Loop: Header=BB11_5 Depth=1
	v_lshl_add_u64 v[4:5], v[22:23], 4, s[30:31]
	global_load_b128 v[28:31], v[4:5], off
	s_wait_loadcnt 0x0
	s_wait_xcnt 0x0
	v_mul_f64_e32 v[4:5], v[2:3], v[30:31]
	v_mul_f64_e32 v[6:7], v[0:1], v[30:31]
	s_delay_alu instid0(VALU_DEP_2) | instskip(NEXT) | instid1(VALU_DEP_2)
	v_fmac_f64_e32 v[4:5], v[0:1], v[28:29]
	v_fma_f64 v[6:7], v[2:3], v[28:29], -v[6:7]
.LBB11_9:                               ;   in Loop: Header=BB11_5 Depth=1
	s_wait_xcnt 0x0
	s_and_saveexec_b32 s3, s2
	s_cbranch_execz .LBB11_13
; %bb.10:                               ;   in Loop: Header=BB11_5 Depth=1
	v_add_nc_u64_e32 v[28:29], s[28:29], v[24:25]
	v_add_nc_u64_e32 v[30:31], s[26:27], v[20:21]
	v_mov_b32_e32 v12, v10
	s_mov_b32 s36, 0
.LBB11_11:                              ;   Parent Loop BB11_5 Depth=1
                                        ; =>  This Inner Loop Header: Depth=2
	global_load_b128 v[32:35], v[28:29], off offset:-8
	global_load_b128 v[36:39], v[30:31], off offset:-8
	s_wait_xcnt 0x1
	v_add_nc_u64_e32 v[28:29], 16, v[28:29]
	s_wait_xcnt 0x0
	v_add_nc_u64_e32 v[30:31], s[14:15], v[30:31]
	v_add_nc_u32_e32 v12, 1, v12
	s_delay_alu instid0(VALU_DEP_1) | instskip(SKIP_4) | instid1(VALU_DEP_2)
	v_cmp_le_i32_e32 vcc_lo, s23, v12
	s_or_b32 s36, vcc_lo, s36
	s_wait_loadcnt 0x0
	v_mul_f64_e32 v[40:41], v[34:35], v[38:39]
	v_mul_f64_e32 v[34:35], v[34:35], v[36:37]
	v_fmac_f64_e32 v[40:41], v[32:33], v[36:37]
	s_delay_alu instid0(VALU_DEP_2) | instskip(NEXT) | instid1(VALU_DEP_2)
	v_fma_f64 v[32:33], v[32:33], v[38:39], -v[34:35]
	v_add_f64_e32 v[4:5], v[4:5], v[40:41]
	s_delay_alu instid0(VALU_DEP_2)
	v_add_f64_e32 v[6:7], v[6:7], v[32:33]
	s_and_not1_b32 exec_lo, exec_lo, s36
	s_cbranch_execnz .LBB11_11
; %bb.12:                               ;   in Loop: Header=BB11_5 Depth=1
	s_or_b32 exec_lo, exec_lo, s36
.LBB11_13:                              ;   in Loop: Header=BB11_5 Depth=1
	s_delay_alu instid0(SALU_CYCLE_1)
	s_or_b32 exec_lo, exec_lo, s3
	s_mov_b32 s36, 0
.LBB11_14:                              ;   in Loop: Header=BB11_5 Depth=1
	s_delay_alu instid0(SALU_CYCLE_1)
	s_and_b32 vcc_lo, exec_lo, s36
	s_cbranch_vccz .LBB11_3
; %bb.15:                               ;   in Loop: Header=BB11_5 Depth=1
	s_and_not1_b32 vcc_lo, exec_lo, s22
	s_cbranch_vccnz .LBB11_17
; %bb.16:                               ;   in Loop: Header=BB11_5 Depth=1
	v_lshl_add_u64 v[4:5], v[18:19], 4, s[30:31]
	s_delay_alu instid0(VALU_DEP_1) | instskip(SKIP_4) | instid1(VALU_DEP_2)
	v_lshl_add_u64 v[4:5], v[8:9], 4, v[4:5]
	global_load_b128 v[4:7], v[4:5], off
	s_wait_loadcnt 0x0
	v_mul_f64_e32 v[28:29], v[2:3], v[6:7]
	v_mul_f64_e32 v[6:7], v[0:1], v[6:7]
	v_fmac_f64_e32 v[28:29], v[0:1], v[4:5]
	s_delay_alu instid0(VALU_DEP_2) | instskip(SKIP_1) | instid1(VALU_DEP_2)
	v_fma_f64 v[2:3], v[2:3], v[4:5], -v[6:7]
	s_wait_xcnt 0x1
	v_mov_b64_e32 v[0:1], v[28:29]
.LBB11_17:                              ;   in Loop: Header=BB11_5 Depth=1
	s_wait_xcnt 0x0
	s_and_saveexec_b32 s3, s1
	s_cbranch_execz .LBB11_2
; %bb.18:                               ;   in Loop: Header=BB11_5 Depth=1
	v_add_nc_u64_e32 v[4:5], s[28:29], v[26:27]
	v_mov_b32_e32 v6, v8
	s_add_nc_u64 s[26:27], s[24:25], s[26:27]
	s_mov_b32 s28, 0
.LBB11_19:                              ;   Parent Loop BB11_5 Depth=1
                                        ; =>  This Inner Loop Header: Depth=2
	global_load_b128 v[28:31], v[4:5], off offset:-8
	global_load_b128 v[32:35], v13, s[26:27] offset:-8
	s_wait_xcnt 0x1
	v_add_nc_u64_e32 v[4:5], 16, v[4:5]
	s_wait_xcnt 0x0
	s_add_nc_u64 s[26:27], s[26:27], s[14:15]
	v_add_nc_u32_e32 v6, -1, v6
	s_delay_alu instid0(VALU_DEP_1) | instskip(SKIP_4) | instid1(VALU_DEP_2)
	v_cmp_eq_u32_e32 vcc_lo, 0, v6
	s_or_b32 s28, vcc_lo, s28
	s_wait_loadcnt 0x0
	v_mul_f64_e32 v[36:37], v[30:31], v[34:35]
	v_mul_f64_e32 v[30:31], v[30:31], v[32:33]
	v_fmac_f64_e32 v[36:37], v[28:29], v[32:33]
	s_delay_alu instid0(VALU_DEP_2) | instskip(NEXT) | instid1(VALU_DEP_2)
	v_fma_f64 v[28:29], v[28:29], v[34:35], -v[30:31]
	v_add_f64_e32 v[0:1], v[0:1], v[36:37]
	s_delay_alu instid0(VALU_DEP_2)
	v_add_f64_e32 v[2:3], v[2:3], v[28:29]
	s_and_not1_b32 exec_lo, exec_lo, s28
	s_cbranch_execnz .LBB11_19
; %bb.20:                               ;   in Loop: Header=BB11_5 Depth=1
	s_or_b32 exec_lo, exec_lo, s28
	s_branch .LBB11_2
.LBB11_21:
	s_endpgm
	.section	.rodata,"a",@progbits
	.p2align	6, 0x0
	.amdhsa_kernel _ZL20rocblas_tpmvc_kernelILi512EPK19rocblas_complex_numIdEPS1_S4_EvbbiT0_llT1_lllT2_li
		.amdhsa_group_segment_fixed_size 0
		.amdhsa_private_segment_fixed_size 0
		.amdhsa_kernarg_size 344
		.amdhsa_user_sgpr_count 2
		.amdhsa_user_sgpr_dispatch_ptr 0
		.amdhsa_user_sgpr_queue_ptr 0
		.amdhsa_user_sgpr_kernarg_segment_ptr 1
		.amdhsa_user_sgpr_dispatch_id 0
		.amdhsa_user_sgpr_kernarg_preload_length 0
		.amdhsa_user_sgpr_kernarg_preload_offset 0
		.amdhsa_user_sgpr_private_segment_size 0
		.amdhsa_wavefront_size32 1
		.amdhsa_uses_dynamic_stack 0
		.amdhsa_enable_private_segment 0
		.amdhsa_system_sgpr_workgroup_id_x 1
		.amdhsa_system_sgpr_workgroup_id_y 0
		.amdhsa_system_sgpr_workgroup_id_z 1
		.amdhsa_system_sgpr_workgroup_info 0
		.amdhsa_system_vgpr_workitem_id 0
		.amdhsa_next_free_vgpr 42
		.amdhsa_next_free_sgpr 37
		.amdhsa_named_barrier_count 0
		.amdhsa_reserve_vcc 1
		.amdhsa_float_round_mode_32 0
		.amdhsa_float_round_mode_16_64 0
		.amdhsa_float_denorm_mode_32 3
		.amdhsa_float_denorm_mode_16_64 3
		.amdhsa_fp16_overflow 0
		.amdhsa_memory_ordered 1
		.amdhsa_forward_progress 1
		.amdhsa_inst_pref_size 9
		.amdhsa_round_robin_scheduling 0
		.amdhsa_exception_fp_ieee_invalid_op 0
		.amdhsa_exception_fp_denorm_src 0
		.amdhsa_exception_fp_ieee_div_zero 0
		.amdhsa_exception_fp_ieee_overflow 0
		.amdhsa_exception_fp_ieee_underflow 0
		.amdhsa_exception_fp_ieee_inexact 0
		.amdhsa_exception_int_div_zero 0
	.end_amdhsa_kernel
	.section	.text._ZL20rocblas_tpmvc_kernelILi512EPK19rocblas_complex_numIdEPS1_S4_EvbbiT0_llT1_lllT2_li,"axG",@progbits,_ZL20rocblas_tpmvc_kernelILi512EPK19rocblas_complex_numIdEPS1_S4_EvbbiT0_llT1_lllT2_li,comdat
.Lfunc_end11:
	.size	_ZL20rocblas_tpmvc_kernelILi512EPK19rocblas_complex_numIdEPS1_S4_EvbbiT0_llT1_lllT2_li, .Lfunc_end11-_ZL20rocblas_tpmvc_kernelILi512EPK19rocblas_complex_numIdEPS1_S4_EvbbiT0_llT1_lllT2_li
                                        ; -- End function
	.set _ZL20rocblas_tpmvc_kernelILi512EPK19rocblas_complex_numIdEPS1_S4_EvbbiT0_llT1_lllT2_li.num_vgpr, 42
	.set _ZL20rocblas_tpmvc_kernelILi512EPK19rocblas_complex_numIdEPS1_S4_EvbbiT0_llT1_lllT2_li.num_agpr, 0
	.set _ZL20rocblas_tpmvc_kernelILi512EPK19rocblas_complex_numIdEPS1_S4_EvbbiT0_llT1_lllT2_li.numbered_sgpr, 37
	.set _ZL20rocblas_tpmvc_kernelILi512EPK19rocblas_complex_numIdEPS1_S4_EvbbiT0_llT1_lllT2_li.num_named_barrier, 0
	.set _ZL20rocblas_tpmvc_kernelILi512EPK19rocblas_complex_numIdEPS1_S4_EvbbiT0_llT1_lllT2_li.private_seg_size, 0
	.set _ZL20rocblas_tpmvc_kernelILi512EPK19rocblas_complex_numIdEPS1_S4_EvbbiT0_llT1_lllT2_li.uses_vcc, 1
	.set _ZL20rocblas_tpmvc_kernelILi512EPK19rocblas_complex_numIdEPS1_S4_EvbbiT0_llT1_lllT2_li.uses_flat_scratch, 0
	.set _ZL20rocblas_tpmvc_kernelILi512EPK19rocblas_complex_numIdEPS1_S4_EvbbiT0_llT1_lllT2_li.has_dyn_sized_stack, 0
	.set _ZL20rocblas_tpmvc_kernelILi512EPK19rocblas_complex_numIdEPS1_S4_EvbbiT0_llT1_lllT2_li.has_recursion, 0
	.set _ZL20rocblas_tpmvc_kernelILi512EPK19rocblas_complex_numIdEPS1_S4_EvbbiT0_llT1_lllT2_li.has_indirect_call, 0
	.section	.AMDGPU.csdata,"",@progbits
; Kernel info:
; codeLenInByte = 1080
; TotalNumSgprs: 39
; NumVgprs: 42
; ScratchSize: 0
; MemoryBound: 0
; FloatMode: 240
; IeeeMode: 1
; LDSByteSize: 0 bytes/workgroup (compile time only)
; SGPRBlocks: 0
; VGPRBlocks: 2
; NumSGPRsForWavesPerEU: 39
; NumVGPRsForWavesPerEU: 42
; NamedBarCnt: 0
; Occupancy: 16
; WaveLimiterHint : 0
; COMPUTE_PGM_RSRC2:SCRATCH_EN: 0
; COMPUTE_PGM_RSRC2:USER_SGPR: 2
; COMPUTE_PGM_RSRC2:TRAP_HANDLER: 0
; COMPUTE_PGM_RSRC2:TGID_X_EN: 1
; COMPUTE_PGM_RSRC2:TGID_Y_EN: 0
; COMPUTE_PGM_RSRC2:TGID_Z_EN: 1
; COMPUTE_PGM_RSRC2:TIDIG_COMP_CNT: 0
	.section	.text._ZL20rocblas_tpmvn_kernelILi512EPKPKfPKPfS4_EvbbiT0_llT1_lllT2_li,"axG",@progbits,_ZL20rocblas_tpmvn_kernelILi512EPKPKfPKPfS4_EvbbiT0_llT1_lllT2_li,comdat
	.globl	_ZL20rocblas_tpmvn_kernelILi512EPKPKfPKPfS4_EvbbiT0_llT1_lllT2_li ; -- Begin function _ZL20rocblas_tpmvn_kernelILi512EPKPKfPKPfS4_EvbbiT0_llT1_lllT2_li
	.p2align	8
	.type	_ZL20rocblas_tpmvn_kernelILi512EPKPKfPKPfS4_EvbbiT0_llT1_lllT2_li,@function
_ZL20rocblas_tpmvn_kernelILi512EPKPKfPKPfS4_EvbbiT0_llT1_lllT2_li: ; @_ZL20rocblas_tpmvn_kernelILi512EPKPKfPKPfS4_EvbbiT0_llT1_lllT2_li
; %bb.0:
	s_load_b32 s33, s[0:1], 0x50
	s_bfe_u32 s2, ttmp6, 0x40014
	s_lshr_b32 s3, ttmp7, 16
	s_add_co_i32 s2, s2, 1
	s_bfe_u32 s5, ttmp6, 0x40008
	s_mul_i32 s4, s3, s2
	s_getreg_b32 s2, hwreg(HW_REG_IB_STS2, 6, 4)
	s_add_co_i32 s5, s5, s4
	s_cmp_eq_u32 s2, 0
	s_mov_b32 s17, 0
	s_cselect_b32 s16, s3, s5
	s_wait_kmcnt 0x0
	s_cmp_ge_u32 s16, s33
	s_cbranch_scc1 .LBB12_21
; %bb.1:
	s_clause 0x5
	s_load_b32 s3, s[0:1], 0x0
	s_load_b64 s[18:19], s[0:1], 0x0
	s_load_b32 s4, s[0:1], 0x64
	s_load_b64 s[22:23], s[0:1], 0x30
	s_load_b128 s[8:11], s[0:1], 0x20
	s_load_b128 s[12:15], s[0:1], 0x8
	s_wait_kmcnt 0x0
	s_bitcmp1_b32 s3, 0
	s_mov_b32 s20, s19
	s_cselect_b32 s3, -1, 0
	s_delay_alu instid0(SALU_CYCLE_1)
	s_xor_b32 s36, s3, -1
	s_bitcmp1_b32 s18, 8
	s_cselect_b32 s3, -1, 0
	s_bfe_u32 s5, ttmp6, 0x4000c
	s_and_b32 s6, ttmp6, 15
	s_add_co_i32 s5, s5, 1
	s_and_b32 s4, s4, 0xffff
	s_mul_i32 s5, ttmp9, s5
	s_xor_b32 s18, s3, -1
	s_add_co_i32 s6, s6, s5
	s_cmp_eq_u32 s2, 0
	v_cndmask_b32_e64 v26, 0, 1, s18
	s_cselect_b32 s2, ttmp9, s6
	s_ashr_i32 s21, s19, 31
	v_mad_u32 v0, s2, s4, v0
	s_load_b128 s[4:7], s[0:1], 0x40
	s_lshl_b64 s[10:11], s[10:11], 2
	s_lshl_b64 s[14:15], s[14:15], 2
	s_delay_alu instid0(VALU_DEP_1)
	v_dual_ashrrev_i32 v1, 31, v0 :: v_dual_add_nc_u32 v2, 1, v0
	s_wait_xcnt 0x0
	v_cmp_gt_i32_e64 s0, s19, v0
	v_cmp_lt_i32_e64 s1, 0, v0
	v_add_nc_u32_e32 v6, 2, v0
	v_add_nc_u64_e32 v[4:5], -1, v[0:1]
	v_ashrrev_i32_e32 v3, 31, v2
	v_mul_u64_e32 v[12:13], s[20:21], v[0:1]
	v_cmp_gt_i32_e64 s2, s19, v2
	v_ashrrev_i32_e32 v7, 31, v6
	s_delay_alu instid0(VALU_DEP_4) | instskip(SKIP_3) | instid1(VALU_DEP_4)
	v_mul_u64_e32 v[10:11], v[2:3], v[0:1]
	v_mul_u64_e32 v[8:9], v[4:5], v[0:1]
	;; [unrolled: 1-line block ×4, first 2 shown]
	v_lshrrev_b64 v[10:11], 1, v[10:11]
	s_delay_alu instid0(VALU_DEP_4) | instskip(SKIP_4) | instid1(VALU_DEP_3)
	v_lshrrev_b64 v[16:17], 1, v[8:9]
	s_wait_kmcnt 0x0
	v_lshl_add_u64 v[8:9], v[0:1], 2, s[4:5]
	v_lshl_add_u64 v[14:15], v[14:15], 2, s[10:11]
	s_lshl_b64 s[4:5], s[22:23], 2
	v_sub_nc_u64_e32 v[12:13], v[12:13], v[16:17]
	v_mov_b32_e32 v17, 0
	s_branch .LBB12_5
.LBB12_2:                               ;   in Loop: Header=BB12_5 Depth=1
	s_or_b32 exec_lo, exec_lo, s3
	s_wait_loadcnt_dscnt 0x0
	v_mov_b32_e32 v18, v27
.LBB12_3:                               ;   in Loop: Header=BB12_5 Depth=1
	s_mul_u64 s[22:23], s[6:7], s[16:17]
	s_delay_alu instid0(SALU_CYCLE_1)
	v_lshl_add_u64 v[20:21], s[22:23], 2, v[8:9]
	global_store_b32 v[20:21], v18, off
.LBB12_4:                               ;   in Loop: Header=BB12_5 Depth=1
	s_wait_xcnt 0x0
	s_or_b32 exec_lo, exec_lo, s37
	s_add_co_i32 s16, s16, 0x10000
	s_delay_alu instid0(SALU_CYCLE_1)
	s_cmp_lt_u32 s16, s33
	s_cbranch_scc0 .LBB12_21
.LBB12_5:                               ; =>This Loop Header: Depth=1
                                        ;     Child Loop BB12_11 Depth 2
                                        ;     Child Loop BB12_19 Depth 2
	s_and_saveexec_b32 s37, s0
	s_cbranch_execz .LBB12_4
; %bb.6:                                ;   in Loop: Header=BB12_5 Depth=1
	s_load_b64 s[22:23], s[8:9], s16 offset:0x0 scale_offset
	s_load_b64 s[24:25], s[12:13], s16 offset:0x0 scale_offset
	v_cmp_ne_u32_e64 s3, 1, v26
	s_and_b32 vcc_lo, exec_lo, s36
	s_mov_b32 s28, -1
	s_wait_kmcnt 0x0
	s_add_nc_u64 s[26:27], s[22:23], s[10:11]
	s_add_nc_u64 s[24:25], s[24:25], s[14:15]
	v_lshl_add_u64 v[18:19], v[4:5], 2, s[26:27]
	s_wait_loadcnt_dscnt 0x0
	flat_load_b32 v27, v[18:19]
                                        ; implicit-def: $vgpr18
	s_cbranch_vccz .LBB12_14
; %bb.7:                                ;   in Loop: Header=BB12_5 Depth=1
	s_wait_loadcnt_dscnt 0x0
	s_wait_xcnt 0x0
	v_mov_b32_e32 v18, v27
	s_and_b32 vcc_lo, exec_lo, s3
	s_cbranch_vccnz .LBB12_9
; %bb.8:                                ;   in Loop: Header=BB12_5 Depth=1
	v_lshl_add_u64 v[18:19], v[12:13], 2, s[24:25]
	flat_load_b32 v16, v[18:19]
	s_wait_loadcnt_dscnt 0x0
	s_wait_xcnt 0x0
	v_mul_f32_e32 v18, v27, v16
.LBB12_9:                               ;   in Loop: Header=BB12_5 Depth=1
	s_and_saveexec_b32 s3, s1
	s_cbranch_execz .LBB12_13
; %bb.10:                               ;   in Loop: Header=BB12_5 Depth=1
	v_mov_b32_e32 v16, v0
	s_mov_b64 s[28:29], 0
	s_mov_b32 s38, 0
	s_mov_b64 s[34:35], 0
	s_mov_b64 s[30:31], 0
.LBB12_11:                              ;   Parent Loop BB12_5 Depth=1
                                        ; =>  This Inner Loop Header: Depth=2
	s_delay_alu instid0(SALU_CYCLE_1) | instskip(SKIP_3) | instid1(VALU_DEP_1)
	v_add_nc_u64_e32 v[20:21], s[30:31], v[16:17]
	s_lshr_b64 s[40:41], s[28:29], 1
	s_add_nc_u64 s[30:31], s[30:31], s[20:21]
	s_add_nc_u64 s[28:29], s[28:29], s[34:35]
	v_sub_nc_u64_e64 v[20:21], v[20:21], s[40:41]
	s_add_nc_u64 s[40:41], s[34:35], 2
	s_delay_alu instid0(SALU_CYCLE_1) | instskip(NEXT) | instid1(VALU_DEP_1)
	s_mov_b64 s[34:35], s[40:41]
	v_lshl_add_u64 v[20:21], v[20:21], 2, s[24:25]
	flat_load_b32 v19, v17, s[26:27]
	flat_load_b32 v22, v[20:21]
	v_add_nc_u32_e32 v16, -1, v16
	s_wait_xcnt 0x1
	s_add_nc_u64 s[26:27], s[26:27], s[4:5]
	s_wait_loadcnt_dscnt 0x0
	v_fmac_f32_e32 v18, v22, v19
	v_cmp_eq_u32_e32 vcc_lo, 0, v16
	s_or_b32 s38, vcc_lo, s38
	s_wait_xcnt 0x0
	s_and_not1_b32 exec_lo, exec_lo, s38
	s_cbranch_execnz .LBB12_11
; %bb.12:                               ;   in Loop: Header=BB12_5 Depth=1
	s_or_b32 exec_lo, exec_lo, s38
.LBB12_13:                              ;   in Loop: Header=BB12_5 Depth=1
	s_delay_alu instid0(SALU_CYCLE_1)
	s_or_b32 exec_lo, exec_lo, s3
	s_mov_b32 s28, 0
.LBB12_14:                              ;   in Loop: Header=BB12_5 Depth=1
	s_delay_alu instid0(SALU_CYCLE_1)
	s_and_b32 vcc_lo, exec_lo, s28
	s_cbranch_vccz .LBB12_3
; %bb.15:                               ;   in Loop: Header=BB12_5 Depth=1
	s_and_not1_b32 vcc_lo, exec_lo, s18
	s_cbranch_vccnz .LBB12_17
; %bb.16:                               ;   in Loop: Header=BB12_5 Depth=1
	s_wait_xcnt 0x0
	v_lshl_add_u64 v[18:19], v[10:11], 2, s[24:25]
	s_delay_alu instid0(VALU_DEP_1)
	v_lshl_add_u64 v[18:19], v[0:1], 2, v[18:19]
	flat_load_b32 v16, v[18:19]
	s_wait_loadcnt_dscnt 0x0
	v_mul_f32_e32 v27, v27, v16
.LBB12_17:                              ;   in Loop: Header=BB12_5 Depth=1
	s_wait_xcnt 0x0
	s_and_saveexec_b32 s3, s2
	s_cbranch_execz .LBB12_2
; %bb.18:                               ;   in Loop: Header=BB12_5 Depth=1
	v_add_nc_u64_e32 v[20:21], s[22:23], v[14:15]
	v_mov_b64_e32 v[24:25], v[2:3]
	v_mov_b64_e32 v[22:23], v[6:7]
	v_lshl_add_u64 v[18:19], v[0:1], 2, s[24:25]
	s_mov_b32 s22, 0
.LBB12_19:                              ;   Parent Loop BB12_5 Depth=1
                                        ; =>  This Inner Loop Header: Depth=2
	s_delay_alu instid0(VALU_DEP_2) | instskip(SKIP_2) | instid1(VALU_DEP_2)
	v_mul_u64_e32 v[28:29], v[22:23], v[24:25]
	v_add_nc_u64_e32 v[24:25], 1, v[24:25]
	v_add_nc_u64_e32 v[22:23], 1, v[22:23]
	v_cmp_le_i32_e32 vcc_lo, s19, v24
	s_or_b32 s22, vcc_lo, s22
	s_delay_alu instid0(VALU_DEP_4) | instskip(NEXT) | instid1(VALU_DEP_1)
	v_lshlrev_b64_e32 v[28:29], 1, v[28:29]
	v_and_b32_e32 v28, -4, v28
	s_delay_alu instid0(VALU_DEP_1)
	v_add_nc_u64_e32 v[28:29], v[18:19], v[28:29]
	flat_load_b32 v16, v[20:21]
	flat_load_b32 v30, v[28:29]
	s_wait_xcnt 0x1
	v_add_nc_u64_e32 v[20:21], s[4:5], v[20:21]
	s_wait_loadcnt_dscnt 0x0
	v_fmac_f32_e32 v27, v30, v16
	s_wait_xcnt 0x0
	s_and_not1_b32 exec_lo, exec_lo, s22
	s_cbranch_execnz .LBB12_19
; %bb.20:                               ;   in Loop: Header=BB12_5 Depth=1
	s_or_b32 exec_lo, exec_lo, s22
	s_branch .LBB12_2
.LBB12_21:
	s_endpgm
	.section	.rodata,"a",@progbits
	.p2align	6, 0x0
	.amdhsa_kernel _ZL20rocblas_tpmvn_kernelILi512EPKPKfPKPfS4_EvbbiT0_llT1_lllT2_li
		.amdhsa_group_segment_fixed_size 0
		.amdhsa_private_segment_fixed_size 0
		.amdhsa_kernarg_size 344
		.amdhsa_user_sgpr_count 2
		.amdhsa_user_sgpr_dispatch_ptr 0
		.amdhsa_user_sgpr_queue_ptr 0
		.amdhsa_user_sgpr_kernarg_segment_ptr 1
		.amdhsa_user_sgpr_dispatch_id 0
		.amdhsa_user_sgpr_kernarg_preload_length 0
		.amdhsa_user_sgpr_kernarg_preload_offset 0
		.amdhsa_user_sgpr_private_segment_size 0
		.amdhsa_wavefront_size32 1
		.amdhsa_uses_dynamic_stack 0
		.amdhsa_enable_private_segment 0
		.amdhsa_system_sgpr_workgroup_id_x 1
		.amdhsa_system_sgpr_workgroup_id_y 0
		.amdhsa_system_sgpr_workgroup_id_z 1
		.amdhsa_system_sgpr_workgroup_info 0
		.amdhsa_system_vgpr_workitem_id 0
		.amdhsa_next_free_vgpr 31
		.amdhsa_next_free_sgpr 42
		.amdhsa_named_barrier_count 0
		.amdhsa_reserve_vcc 1
		.amdhsa_float_round_mode_32 0
		.amdhsa_float_round_mode_16_64 0
		.amdhsa_float_denorm_mode_32 3
		.amdhsa_float_denorm_mode_16_64 3
		.amdhsa_fp16_overflow 0
		.amdhsa_memory_ordered 1
		.amdhsa_forward_progress 1
		.amdhsa_inst_pref_size 8
		.amdhsa_round_robin_scheduling 0
		.amdhsa_exception_fp_ieee_invalid_op 0
		.amdhsa_exception_fp_denorm_src 0
		.amdhsa_exception_fp_ieee_div_zero 0
		.amdhsa_exception_fp_ieee_overflow 0
		.amdhsa_exception_fp_ieee_underflow 0
		.amdhsa_exception_fp_ieee_inexact 0
		.amdhsa_exception_int_div_zero 0
	.end_amdhsa_kernel
	.section	.text._ZL20rocblas_tpmvn_kernelILi512EPKPKfPKPfS4_EvbbiT0_llT1_lllT2_li,"axG",@progbits,_ZL20rocblas_tpmvn_kernelILi512EPKPKfPKPfS4_EvbbiT0_llT1_lllT2_li,comdat
.Lfunc_end12:
	.size	_ZL20rocblas_tpmvn_kernelILi512EPKPKfPKPfS4_EvbbiT0_llT1_lllT2_li, .Lfunc_end12-_ZL20rocblas_tpmvn_kernelILi512EPKPKfPKPfS4_EvbbiT0_llT1_lllT2_li
                                        ; -- End function
	.set _ZL20rocblas_tpmvn_kernelILi512EPKPKfPKPfS4_EvbbiT0_llT1_lllT2_li.num_vgpr, 31
	.set _ZL20rocblas_tpmvn_kernelILi512EPKPKfPKPfS4_EvbbiT0_llT1_lllT2_li.num_agpr, 0
	.set _ZL20rocblas_tpmvn_kernelILi512EPKPKfPKPfS4_EvbbiT0_llT1_lllT2_li.numbered_sgpr, 42
	.set _ZL20rocblas_tpmvn_kernelILi512EPKPKfPKPfS4_EvbbiT0_llT1_lllT2_li.num_named_barrier, 0
	.set _ZL20rocblas_tpmvn_kernelILi512EPKPKfPKPfS4_EvbbiT0_llT1_lllT2_li.private_seg_size, 0
	.set _ZL20rocblas_tpmvn_kernelILi512EPKPKfPKPfS4_EvbbiT0_llT1_lllT2_li.uses_vcc, 1
	.set _ZL20rocblas_tpmvn_kernelILi512EPKPKfPKPfS4_EvbbiT0_llT1_lllT2_li.uses_flat_scratch, 0
	.set _ZL20rocblas_tpmvn_kernelILi512EPKPKfPKPfS4_EvbbiT0_llT1_lllT2_li.has_dyn_sized_stack, 0
	.set _ZL20rocblas_tpmvn_kernelILi512EPKPKfPKPfS4_EvbbiT0_llT1_lllT2_li.has_recursion, 0
	.set _ZL20rocblas_tpmvn_kernelILi512EPKPKfPKPfS4_EvbbiT0_llT1_lllT2_li.has_indirect_call, 0
	.section	.AMDGPU.csdata,"",@progbits
; Kernel info:
; codeLenInByte = 936
; TotalNumSgprs: 44
; NumVgprs: 31
; ScratchSize: 0
; MemoryBound: 0
; FloatMode: 240
; IeeeMode: 1
; LDSByteSize: 0 bytes/workgroup (compile time only)
; SGPRBlocks: 0
; VGPRBlocks: 1
; NumSGPRsForWavesPerEU: 44
; NumVGPRsForWavesPerEU: 31
; NamedBarCnt: 0
; Occupancy: 16
; WaveLimiterHint : 1
; COMPUTE_PGM_RSRC2:SCRATCH_EN: 0
; COMPUTE_PGM_RSRC2:USER_SGPR: 2
; COMPUTE_PGM_RSRC2:TRAP_HANDLER: 0
; COMPUTE_PGM_RSRC2:TGID_X_EN: 1
; COMPUTE_PGM_RSRC2:TGID_Y_EN: 0
; COMPUTE_PGM_RSRC2:TGID_Z_EN: 1
; COMPUTE_PGM_RSRC2:TIDIG_COMP_CNT: 0
	.section	.text._ZL20rocblas_tpmvt_kernelILi512EPKPKfPKPfS4_EvbbiT0_llT1_lllT2_li,"axG",@progbits,_ZL20rocblas_tpmvt_kernelILi512EPKPKfPKPfS4_EvbbiT0_llT1_lllT2_li,comdat
	.globl	_ZL20rocblas_tpmvt_kernelILi512EPKPKfPKPfS4_EvbbiT0_llT1_lllT2_li ; -- Begin function _ZL20rocblas_tpmvt_kernelILi512EPKPKfPKPfS4_EvbbiT0_llT1_lllT2_li
	.p2align	8
	.type	_ZL20rocblas_tpmvt_kernelILi512EPKPKfPKPfS4_EvbbiT0_llT1_lllT2_li,@function
_ZL20rocblas_tpmvt_kernelILi512EPKPKfPKPfS4_EvbbiT0_llT1_lllT2_li: ; @_ZL20rocblas_tpmvt_kernelILi512EPKPKfPKPfS4_EvbbiT0_llT1_lllT2_li
; %bb.0:
	s_load_b32 s28, s[0:1], 0x50
	s_bfe_u32 s2, ttmp6, 0x40014
	s_lshr_b32 s3, ttmp7, 16
	s_add_co_i32 s2, s2, 1
	s_bfe_u32 s5, ttmp6, 0x40008
	s_mul_i32 s4, s3, s2
	s_getreg_b32 s2, hwreg(HW_REG_IB_STS2, 6, 4)
	s_add_co_i32 s5, s5, s4
	s_cmp_eq_u32 s2, 0
	s_mov_b32 s17, 0
	s_cselect_b32 s16, s3, s5
	s_wait_kmcnt 0x0
	s_cmp_ge_u32 s16, s28
	s_cbranch_scc1 .LBB13_21
; %bb.1:
	s_clause 0x4
	s_load_b32 s3, s[0:1], 0x0
	s_load_b64 s[18:19], s[0:1], 0x0
	s_load_b32 s4, s[0:1], 0x64
	s_load_b128 s[8:11], s[0:1], 0x20
	s_load_b64 s[20:21], s[0:1], 0x30
	v_mov_b32_e32 v3, 0
	s_wait_kmcnt 0x0
	s_bitcmp1_b32 s3, 0
	s_cselect_b32 s3, -1, 0
	s_delay_alu instid0(SALU_CYCLE_1)
	s_xor_b32 s29, s3, -1
	s_bitcmp1_b32 s18, 8
	s_cselect_b32 s3, -1, 0
	s_bfe_u32 s5, ttmp6, 0x4000c
	s_and_b32 s6, ttmp6, 15
	s_add_co_i32 s5, s5, 1
	s_and_b32 s4, s4, 0xffff
	s_mul_i32 s5, ttmp9, s5
	s_xor_b32 s18, s3, -1
	s_add_co_i32 s6, s6, s5
	s_cmp_eq_u32 s2, 0
	s_cselect_b32 s2, ttmp9, s6
	s_ashr_i32 s3, s19, 31
	v_mad_u32 v0, s2, s4, v0
	s_load_b128 s[4:7], s[0:1], 0x8
	s_mov_b32 s2, s19
	s_lshl_b64 s[10:11], s[10:11], 2
	s_lshl_b64 s[12:13], s[2:3], 2
	s_delay_alu instid0(SALU_CYCLE_1) | instskip(SKIP_1) | instid1(VALU_DEP_1)
	s_add_nc_u64 s[22:23], s[12:13], -4
	s_load_b128 s[12:15], s[0:1], 0x40
	v_dual_ashrrev_i32 v1, 31, v0 :: v_dual_add_nc_u32 v4, 1, v0
	s_wait_xcnt 0x0
	v_cmp_gt_i32_e64 s0, s19, v0
	s_delay_alu instid0(VALU_DEP_2)
	v_add_nc_u64_e32 v[6:7], -1, v[0:1]
	v_mul_u64_e32 v[10:11], s[2:3], v[0:1]
	v_dual_mov_b32 v2, v4 :: v_dual_ashrrev_i32 v5, 31, v4
	v_cmp_gt_i32_e64 s1, s19, v4
	s_wait_kmcnt 0x0
	s_lshl_b64 s[6:7], s[6:7], 2
	v_cmp_lt_i32_e64 s2, 0, v0
	v_mul_u64_e32 v[8:9], v[6:7], v[0:1]
	v_mad_nc_u64_u32 v[12:13], s22, v0, s[6:7]
	v_mul_u64_e32 v[14:15], v[4:5], v[0:1]
	v_mul_u64_e32 v[16:17], v[2:3], v[0:1]
	;; [unrolled: 1-line block ×4, first 2 shown]
	v_mad_u32 v2, s23, v0, v13
	s_delay_alu instid0(VALU_DEP_1) | instskip(SKIP_2) | instid1(VALU_DEP_3)
	v_mad_u32 v13, s22, v1, v2
	v_cndmask_b32_e64 v2, 0, 1, s18
	v_lshrrev_b64 v[20:21], 1, v[8:9]
	v_lshl_add_u64 v[22:23], v[4:5], 2, v[12:13]
	v_lshrrev_b64 v[12:13], 1, v[16:17]
	v_lshl_add_u64 v[18:19], v[18:19], 2, s[10:11]
	s_delay_alu instid0(VALU_DEP_4) | instskip(SKIP_4) | instid1(VALU_DEP_3)
	v_sub_nc_u64_e32 v[8:9], v[10:11], v[20:21]
	v_lshlrev_b64_e32 v[20:21], 2, v[20:21]
	v_lshrrev_b64 v[10:11], 1, v[14:15]
	v_lshl_add_u64 v[14:15], v[0:1], 2, s[12:13]
	s_lshl_b64 s[12:13], s[20:21], 2
	v_sub_nc_u64_e32 v[16:17], v[22:23], v[20:21]
	s_branch .LBB13_5
.LBB13_2:                               ;   in Loop: Header=BB13_5 Depth=1
	s_or_b32 exec_lo, exec_lo, s3
	s_wait_loadcnt_dscnt 0x0
	v_mov_b32_e32 v24, v5
.LBB13_3:                               ;   in Loop: Header=BB13_5 Depth=1
	s_mul_u64 s[20:21], s[14:15], s[16:17]
	s_wait_xcnt 0x0
	v_lshl_add_u64 v[20:21], s[20:21], 2, v[14:15]
	global_store_b32 v[20:21], v24, off
.LBB13_4:                               ;   in Loop: Header=BB13_5 Depth=1
	s_wait_xcnt 0x0
	s_or_b32 exec_lo, exec_lo, s30
	s_add_co_i32 s16, s16, 0x10000
	s_delay_alu instid0(SALU_CYCLE_1)
	s_cmp_lt_u32 s16, s28
	s_cbranch_scc0 .LBB13_21
.LBB13_5:                               ; =>This Loop Header: Depth=1
                                        ;     Child Loop BB13_11 Depth 2
                                        ;     Child Loop BB13_19 Depth 2
	s_and_saveexec_b32 s30, s0
	s_cbranch_execz .LBB13_4
; %bb.6:                                ;   in Loop: Header=BB13_5 Depth=1
	s_load_b64 s[24:25], s[8:9], s16 offset:0x0 scale_offset
	s_load_b64 s[26:27], s[4:5], s16 offset:0x0 scale_offset
	v_cmp_ne_u32_e64 s3, 1, v2
	s_and_b32 vcc_lo, exec_lo, s29
	s_mov_b32 s31, -1
                                        ; implicit-def: $vgpr24
	s_wait_kmcnt 0x0
	s_add_nc_u64 s[20:21], s[24:25], s[10:11]
	s_add_nc_u64 s[22:23], s[26:27], s[6:7]
	v_lshl_add_u64 v[20:21], v[6:7], 2, s[20:21]
	s_wait_loadcnt_dscnt 0x0
	flat_load_b32 v5, v[20:21]
	s_cbranch_vccz .LBB13_14
; %bb.7:                                ;   in Loop: Header=BB13_5 Depth=1
	s_wait_loadcnt_dscnt 0x0
	v_mov_b32_e32 v24, v5
	s_and_b32 vcc_lo, exec_lo, s3
	s_cbranch_vccnz .LBB13_9
; %bb.8:                                ;   in Loop: Header=BB13_5 Depth=1
	s_wait_xcnt 0x0
	v_lshl_add_u64 v[20:21], v[8:9], 2, s[22:23]
	flat_load_b32 v20, v[20:21]
	s_wait_loadcnt_dscnt 0x0
	v_mul_f32_e32 v24, v5, v20
.LBB13_9:                               ;   in Loop: Header=BB13_5 Depth=1
	s_wait_xcnt 0x0
	s_and_saveexec_b32 s3, s1
	s_cbranch_execz .LBB13_13
; %bb.10:                               ;   in Loop: Header=BB13_5 Depth=1
	v_add_nc_u64_e32 v[20:21], s[24:25], v[18:19]
	v_add_nc_u64_e32 v[22:23], s[26:27], v[16:17]
	v_mov_b32_e32 v25, v4
	s_mov_b32 s24, 0
.LBB13_11:                              ;   Parent Loop BB13_5 Depth=1
                                        ; =>  This Inner Loop Header: Depth=2
	flat_load_b32 v26, v[22:23]
	flat_load_b32 v27, v[20:21]
	v_add_nc_u32_e32 v25, 1, v25
	s_wait_xcnt 0x0
	v_add_nc_u64_e32 v[20:21], s[12:13], v[20:21]
	v_add_nc_u64_e32 v[22:23], 4, v[22:23]
	s_wait_loadcnt_dscnt 0x0
	v_fmac_f32_e32 v24, v26, v27
	v_cmp_le_i32_e32 vcc_lo, s19, v25
	s_or_b32 s24, vcc_lo, s24
	s_delay_alu instid0(SALU_CYCLE_1)
	s_and_not1_b32 exec_lo, exec_lo, s24
	s_cbranch_execnz .LBB13_11
; %bb.12:                               ;   in Loop: Header=BB13_5 Depth=1
	s_or_b32 exec_lo, exec_lo, s24
.LBB13_13:                              ;   in Loop: Header=BB13_5 Depth=1
	s_delay_alu instid0(SALU_CYCLE_1)
	s_or_b32 exec_lo, exec_lo, s3
	s_mov_b32 s31, 0
.LBB13_14:                              ;   in Loop: Header=BB13_5 Depth=1
	s_delay_alu instid0(SALU_CYCLE_1)
	s_and_b32 vcc_lo, exec_lo, s31
	s_cbranch_vccz .LBB13_3
; %bb.15:                               ;   in Loop: Header=BB13_5 Depth=1
	s_and_not1_b32 vcc_lo, exec_lo, s18
	s_cbranch_vccnz .LBB13_17
; %bb.16:                               ;   in Loop: Header=BB13_5 Depth=1
	s_wait_xcnt 0x0
	v_lshl_add_u64 v[20:21], v[10:11], 2, s[22:23]
	s_delay_alu instid0(VALU_DEP_1)
	v_lshl_add_u64 v[20:21], v[0:1], 2, v[20:21]
	flat_load_b32 v20, v[20:21]
	s_wait_loadcnt_dscnt 0x0
	v_mul_f32_e32 v5, v5, v20
.LBB13_17:                              ;   in Loop: Header=BB13_5 Depth=1
	s_wait_xcnt 0x0
	s_and_saveexec_b32 s3, s2
	s_cbranch_execz .LBB13_2
; %bb.18:                               ;   in Loop: Header=BB13_5 Depth=1
	v_lshl_add_u64 v[20:21], v[12:13], 2, s[22:23]
	v_mov_b32_e32 v22, v0
	s_mov_b32 s22, 0
.LBB13_19:                              ;   Parent Loop BB13_5 Depth=1
                                        ; =>  This Inner Loop Header: Depth=2
	flat_load_b32 v23, v[20:21]
	flat_load_b32 v24, v3, s[20:21]
	v_add_nc_u32_e32 v22, -1, v22
	s_wait_xcnt 0x1
	v_add_nc_u64_e32 v[20:21], 4, v[20:21]
	s_wait_xcnt 0x0
	s_add_nc_u64 s[20:21], s[20:21], s[12:13]
	s_wait_loadcnt_dscnt 0x0
	v_fmac_f32_e32 v5, v23, v24
	v_cmp_eq_u32_e32 vcc_lo, 0, v22
	s_or_b32 s22, vcc_lo, s22
	s_delay_alu instid0(SALU_CYCLE_1)
	s_and_not1_b32 exec_lo, exec_lo, s22
	s_cbranch_execnz .LBB13_19
; %bb.20:                               ;   in Loop: Header=BB13_5 Depth=1
	s_or_b32 exec_lo, exec_lo, s22
	s_branch .LBB13_2
.LBB13_21:
	s_endpgm
	.section	.rodata,"a",@progbits
	.p2align	6, 0x0
	.amdhsa_kernel _ZL20rocblas_tpmvt_kernelILi512EPKPKfPKPfS4_EvbbiT0_llT1_lllT2_li
		.amdhsa_group_segment_fixed_size 0
		.amdhsa_private_segment_fixed_size 0
		.amdhsa_kernarg_size 344
		.amdhsa_user_sgpr_count 2
		.amdhsa_user_sgpr_dispatch_ptr 0
		.amdhsa_user_sgpr_queue_ptr 0
		.amdhsa_user_sgpr_kernarg_segment_ptr 1
		.amdhsa_user_sgpr_dispatch_id 0
		.amdhsa_user_sgpr_kernarg_preload_length 0
		.amdhsa_user_sgpr_kernarg_preload_offset 0
		.amdhsa_user_sgpr_private_segment_size 0
		.amdhsa_wavefront_size32 1
		.amdhsa_uses_dynamic_stack 0
		.amdhsa_enable_private_segment 0
		.amdhsa_system_sgpr_workgroup_id_x 1
		.amdhsa_system_sgpr_workgroup_id_y 0
		.amdhsa_system_sgpr_workgroup_id_z 1
		.amdhsa_system_sgpr_workgroup_info 0
		.amdhsa_system_vgpr_workitem_id 0
		.amdhsa_next_free_vgpr 28
		.amdhsa_next_free_sgpr 32
		.amdhsa_named_barrier_count 0
		.amdhsa_reserve_vcc 1
		.amdhsa_float_round_mode_32 0
		.amdhsa_float_round_mode_16_64 0
		.amdhsa_float_denorm_mode_32 3
		.amdhsa_float_denorm_mode_16_64 3
		.amdhsa_fp16_overflow 0
		.amdhsa_memory_ordered 1
		.amdhsa_forward_progress 1
		.amdhsa_inst_pref_size 8
		.amdhsa_round_robin_scheduling 0
		.amdhsa_exception_fp_ieee_invalid_op 0
		.amdhsa_exception_fp_denorm_src 0
		.amdhsa_exception_fp_ieee_div_zero 0
		.amdhsa_exception_fp_ieee_overflow 0
		.amdhsa_exception_fp_ieee_underflow 0
		.amdhsa_exception_fp_ieee_inexact 0
		.amdhsa_exception_int_div_zero 0
	.end_amdhsa_kernel
	.section	.text._ZL20rocblas_tpmvt_kernelILi512EPKPKfPKPfS4_EvbbiT0_llT1_lllT2_li,"axG",@progbits,_ZL20rocblas_tpmvt_kernelILi512EPKPKfPKPfS4_EvbbiT0_llT1_lllT2_li,comdat
.Lfunc_end13:
	.size	_ZL20rocblas_tpmvt_kernelILi512EPKPKfPKPfS4_EvbbiT0_llT1_lllT2_li, .Lfunc_end13-_ZL20rocblas_tpmvt_kernelILi512EPKPKfPKPfS4_EvbbiT0_llT1_lllT2_li
                                        ; -- End function
	.set _ZL20rocblas_tpmvt_kernelILi512EPKPKfPKPfS4_EvbbiT0_llT1_lllT2_li.num_vgpr, 28
	.set _ZL20rocblas_tpmvt_kernelILi512EPKPKfPKPfS4_EvbbiT0_llT1_lllT2_li.num_agpr, 0
	.set _ZL20rocblas_tpmvt_kernelILi512EPKPKfPKPfS4_EvbbiT0_llT1_lllT2_li.numbered_sgpr, 32
	.set _ZL20rocblas_tpmvt_kernelILi512EPKPKfPKPfS4_EvbbiT0_llT1_lllT2_li.num_named_barrier, 0
	.set _ZL20rocblas_tpmvt_kernelILi512EPKPKfPKPfS4_EvbbiT0_llT1_lllT2_li.private_seg_size, 0
	.set _ZL20rocblas_tpmvt_kernelILi512EPKPKfPKPfS4_EvbbiT0_llT1_lllT2_li.uses_vcc, 1
	.set _ZL20rocblas_tpmvt_kernelILi512EPKPKfPKPfS4_EvbbiT0_llT1_lllT2_li.uses_flat_scratch, 0
	.set _ZL20rocblas_tpmvt_kernelILi512EPKPKfPKPfS4_EvbbiT0_llT1_lllT2_li.has_dyn_sized_stack, 0
	.set _ZL20rocblas_tpmvt_kernelILi512EPKPKfPKPfS4_EvbbiT0_llT1_lllT2_li.has_recursion, 0
	.set _ZL20rocblas_tpmvt_kernelILi512EPKPKfPKPfS4_EvbbiT0_llT1_lllT2_li.has_indirect_call, 0
	.section	.AMDGPU.csdata,"",@progbits
; Kernel info:
; codeLenInByte = 916
; TotalNumSgprs: 34
; NumVgprs: 28
; ScratchSize: 0
; MemoryBound: 0
; FloatMode: 240
; IeeeMode: 1
; LDSByteSize: 0 bytes/workgroup (compile time only)
; SGPRBlocks: 0
; VGPRBlocks: 1
; NumSGPRsForWavesPerEU: 34
; NumVGPRsForWavesPerEU: 28
; NamedBarCnt: 0
; Occupancy: 16
; WaveLimiterHint : 1
; COMPUTE_PGM_RSRC2:SCRATCH_EN: 0
; COMPUTE_PGM_RSRC2:USER_SGPR: 2
; COMPUTE_PGM_RSRC2:TRAP_HANDLER: 0
; COMPUTE_PGM_RSRC2:TGID_X_EN: 1
; COMPUTE_PGM_RSRC2:TGID_Y_EN: 0
; COMPUTE_PGM_RSRC2:TGID_Z_EN: 1
; COMPUTE_PGM_RSRC2:TIDIG_COMP_CNT: 0
	.section	.text._ZL20rocblas_tpmvc_kernelILi512EPKPKfPKPfS4_EvbbiT0_llT1_lllT2_li,"axG",@progbits,_ZL20rocblas_tpmvc_kernelILi512EPKPKfPKPfS4_EvbbiT0_llT1_lllT2_li,comdat
	.globl	_ZL20rocblas_tpmvc_kernelILi512EPKPKfPKPfS4_EvbbiT0_llT1_lllT2_li ; -- Begin function _ZL20rocblas_tpmvc_kernelILi512EPKPKfPKPfS4_EvbbiT0_llT1_lllT2_li
	.p2align	8
	.type	_ZL20rocblas_tpmvc_kernelILi512EPKPKfPKPfS4_EvbbiT0_llT1_lllT2_li,@function
_ZL20rocblas_tpmvc_kernelILi512EPKPKfPKPfS4_EvbbiT0_llT1_lllT2_li: ; @_ZL20rocblas_tpmvc_kernelILi512EPKPKfPKPfS4_EvbbiT0_llT1_lllT2_li
; %bb.0:
	s_load_b32 s28, s[0:1], 0x50
	s_bfe_u32 s2, ttmp6, 0x40014
	s_lshr_b32 s3, ttmp7, 16
	s_add_co_i32 s2, s2, 1
	s_bfe_u32 s5, ttmp6, 0x40008
	s_mul_i32 s4, s3, s2
	s_getreg_b32 s2, hwreg(HW_REG_IB_STS2, 6, 4)
	s_add_co_i32 s5, s5, s4
	s_cmp_eq_u32 s2, 0
	s_mov_b32 s17, 0
	s_cselect_b32 s16, s3, s5
	s_wait_kmcnt 0x0
	s_cmp_ge_u32 s16, s28
	s_cbranch_scc1 .LBB14_21
; %bb.1:
	s_clause 0x4
	s_load_b32 s3, s[0:1], 0x0
	s_load_b64 s[18:19], s[0:1], 0x0
	s_load_b32 s4, s[0:1], 0x64
	s_load_b128 s[8:11], s[0:1], 0x20
	s_load_b64 s[20:21], s[0:1], 0x30
	v_mov_b32_e32 v3, 0
	s_wait_kmcnt 0x0
	s_bitcmp1_b32 s3, 0
	s_cselect_b32 s3, -1, 0
	s_delay_alu instid0(SALU_CYCLE_1)
	s_xor_b32 s29, s3, -1
	s_bitcmp1_b32 s18, 8
	s_cselect_b32 s3, -1, 0
	s_bfe_u32 s5, ttmp6, 0x4000c
	s_and_b32 s6, ttmp6, 15
	s_add_co_i32 s5, s5, 1
	s_and_b32 s4, s4, 0xffff
	s_mul_i32 s5, ttmp9, s5
	s_xor_b32 s18, s3, -1
	s_add_co_i32 s6, s6, s5
	s_cmp_eq_u32 s2, 0
	s_cselect_b32 s2, ttmp9, s6
	s_ashr_i32 s3, s19, 31
	v_mad_u32 v0, s2, s4, v0
	s_load_b128 s[4:7], s[0:1], 0x8
	s_mov_b32 s2, s19
	s_lshl_b64 s[10:11], s[10:11], 2
	s_lshl_b64 s[12:13], s[2:3], 2
	s_delay_alu instid0(SALU_CYCLE_1) | instskip(SKIP_1) | instid1(VALU_DEP_1)
	s_add_nc_u64 s[22:23], s[12:13], -4
	s_load_b128 s[12:15], s[0:1], 0x40
	v_dual_ashrrev_i32 v1, 31, v0 :: v_dual_add_nc_u32 v4, 1, v0
	s_wait_xcnt 0x0
	v_cmp_gt_i32_e64 s0, s19, v0
	s_delay_alu instid0(VALU_DEP_2)
	v_add_nc_u64_e32 v[6:7], -1, v[0:1]
	v_mul_u64_e32 v[10:11], s[2:3], v[0:1]
	v_dual_mov_b32 v2, v4 :: v_dual_ashrrev_i32 v5, 31, v4
	v_cmp_gt_i32_e64 s1, s19, v4
	s_wait_kmcnt 0x0
	s_lshl_b64 s[6:7], s[6:7], 2
	v_cmp_lt_i32_e64 s2, 0, v0
	v_mul_u64_e32 v[8:9], v[6:7], v[0:1]
	v_mad_nc_u64_u32 v[12:13], s22, v0, s[6:7]
	v_mul_u64_e32 v[14:15], v[4:5], v[0:1]
	v_mul_u64_e32 v[16:17], v[2:3], v[0:1]
	;; [unrolled: 1-line block ×4, first 2 shown]
	v_mad_u32 v2, s23, v0, v13
	s_delay_alu instid0(VALU_DEP_1) | instskip(SKIP_2) | instid1(VALU_DEP_3)
	v_mad_u32 v13, s22, v1, v2
	v_cndmask_b32_e64 v2, 0, 1, s18
	v_lshrrev_b64 v[20:21], 1, v[8:9]
	v_lshl_add_u64 v[22:23], v[4:5], 2, v[12:13]
	v_lshrrev_b64 v[12:13], 1, v[16:17]
	v_lshl_add_u64 v[18:19], v[18:19], 2, s[10:11]
	s_delay_alu instid0(VALU_DEP_4) | instskip(SKIP_4) | instid1(VALU_DEP_3)
	v_sub_nc_u64_e32 v[8:9], v[10:11], v[20:21]
	v_lshlrev_b64_e32 v[20:21], 2, v[20:21]
	v_lshrrev_b64 v[10:11], 1, v[14:15]
	v_lshl_add_u64 v[14:15], v[0:1], 2, s[12:13]
	s_lshl_b64 s[12:13], s[20:21], 2
	v_sub_nc_u64_e32 v[16:17], v[22:23], v[20:21]
	s_branch .LBB14_5
.LBB14_2:                               ;   in Loop: Header=BB14_5 Depth=1
	s_or_b32 exec_lo, exec_lo, s3
	s_wait_loadcnt_dscnt 0x0
	v_mov_b32_e32 v24, v5
.LBB14_3:                               ;   in Loop: Header=BB14_5 Depth=1
	s_mul_u64 s[20:21], s[14:15], s[16:17]
	s_wait_xcnt 0x0
	v_lshl_add_u64 v[20:21], s[20:21], 2, v[14:15]
	global_store_b32 v[20:21], v24, off
.LBB14_4:                               ;   in Loop: Header=BB14_5 Depth=1
	s_wait_xcnt 0x0
	s_or_b32 exec_lo, exec_lo, s30
	s_add_co_i32 s16, s16, 0x10000
	s_delay_alu instid0(SALU_CYCLE_1)
	s_cmp_lt_u32 s16, s28
	s_cbranch_scc0 .LBB14_21
.LBB14_5:                               ; =>This Loop Header: Depth=1
                                        ;     Child Loop BB14_11 Depth 2
                                        ;     Child Loop BB14_19 Depth 2
	s_and_saveexec_b32 s30, s0
	s_cbranch_execz .LBB14_4
; %bb.6:                                ;   in Loop: Header=BB14_5 Depth=1
	s_load_b64 s[24:25], s[8:9], s16 offset:0x0 scale_offset
	s_load_b64 s[26:27], s[4:5], s16 offset:0x0 scale_offset
	v_cmp_ne_u32_e64 s3, 1, v2
	s_and_b32 vcc_lo, exec_lo, s29
	s_mov_b32 s31, -1
                                        ; implicit-def: $vgpr24
	s_wait_kmcnt 0x0
	s_add_nc_u64 s[20:21], s[24:25], s[10:11]
	s_add_nc_u64 s[22:23], s[26:27], s[6:7]
	v_lshl_add_u64 v[20:21], v[6:7], 2, s[20:21]
	s_wait_loadcnt_dscnt 0x0
	flat_load_b32 v5, v[20:21]
	s_cbranch_vccz .LBB14_14
; %bb.7:                                ;   in Loop: Header=BB14_5 Depth=1
	s_wait_loadcnt_dscnt 0x0
	v_mov_b32_e32 v24, v5
	s_and_b32 vcc_lo, exec_lo, s3
	s_cbranch_vccnz .LBB14_9
; %bb.8:                                ;   in Loop: Header=BB14_5 Depth=1
	s_wait_xcnt 0x0
	v_lshl_add_u64 v[20:21], v[8:9], 2, s[22:23]
	flat_load_b32 v20, v[20:21]
	s_wait_loadcnt_dscnt 0x0
	v_mul_f32_e32 v24, v5, v20
.LBB14_9:                               ;   in Loop: Header=BB14_5 Depth=1
	s_wait_xcnt 0x0
	s_and_saveexec_b32 s3, s1
	s_cbranch_execz .LBB14_13
; %bb.10:                               ;   in Loop: Header=BB14_5 Depth=1
	v_add_nc_u64_e32 v[20:21], s[24:25], v[18:19]
	v_add_nc_u64_e32 v[22:23], s[26:27], v[16:17]
	v_mov_b32_e32 v25, v4
	s_mov_b32 s24, 0
.LBB14_11:                              ;   Parent Loop BB14_5 Depth=1
                                        ; =>  This Inner Loop Header: Depth=2
	flat_load_b32 v26, v[22:23]
	flat_load_b32 v27, v[20:21]
	v_add_nc_u32_e32 v25, 1, v25
	s_wait_xcnt 0x0
	v_add_nc_u64_e32 v[20:21], s[12:13], v[20:21]
	v_add_nc_u64_e32 v[22:23], 4, v[22:23]
	s_wait_loadcnt_dscnt 0x0
	v_fmac_f32_e32 v24, v26, v27
	v_cmp_le_i32_e32 vcc_lo, s19, v25
	s_or_b32 s24, vcc_lo, s24
	s_delay_alu instid0(SALU_CYCLE_1)
	s_and_not1_b32 exec_lo, exec_lo, s24
	s_cbranch_execnz .LBB14_11
; %bb.12:                               ;   in Loop: Header=BB14_5 Depth=1
	s_or_b32 exec_lo, exec_lo, s24
.LBB14_13:                              ;   in Loop: Header=BB14_5 Depth=1
	s_delay_alu instid0(SALU_CYCLE_1)
	s_or_b32 exec_lo, exec_lo, s3
	s_mov_b32 s31, 0
.LBB14_14:                              ;   in Loop: Header=BB14_5 Depth=1
	s_delay_alu instid0(SALU_CYCLE_1)
	s_and_b32 vcc_lo, exec_lo, s31
	s_cbranch_vccz .LBB14_3
; %bb.15:                               ;   in Loop: Header=BB14_5 Depth=1
	s_and_not1_b32 vcc_lo, exec_lo, s18
	s_cbranch_vccnz .LBB14_17
; %bb.16:                               ;   in Loop: Header=BB14_5 Depth=1
	s_wait_xcnt 0x0
	v_lshl_add_u64 v[20:21], v[10:11], 2, s[22:23]
	s_delay_alu instid0(VALU_DEP_1)
	v_lshl_add_u64 v[20:21], v[0:1], 2, v[20:21]
	flat_load_b32 v20, v[20:21]
	s_wait_loadcnt_dscnt 0x0
	v_mul_f32_e32 v5, v5, v20
.LBB14_17:                              ;   in Loop: Header=BB14_5 Depth=1
	s_wait_xcnt 0x0
	s_and_saveexec_b32 s3, s2
	s_cbranch_execz .LBB14_2
; %bb.18:                               ;   in Loop: Header=BB14_5 Depth=1
	v_lshl_add_u64 v[20:21], v[12:13], 2, s[22:23]
	v_mov_b32_e32 v22, v0
	s_mov_b32 s22, 0
.LBB14_19:                              ;   Parent Loop BB14_5 Depth=1
                                        ; =>  This Inner Loop Header: Depth=2
	flat_load_b32 v23, v[20:21]
	flat_load_b32 v24, v3, s[20:21]
	v_add_nc_u32_e32 v22, -1, v22
	s_wait_xcnt 0x1
	v_add_nc_u64_e32 v[20:21], 4, v[20:21]
	s_wait_xcnt 0x0
	s_add_nc_u64 s[20:21], s[20:21], s[12:13]
	s_wait_loadcnt_dscnt 0x0
	v_fmac_f32_e32 v5, v23, v24
	v_cmp_eq_u32_e32 vcc_lo, 0, v22
	s_or_b32 s22, vcc_lo, s22
	s_delay_alu instid0(SALU_CYCLE_1)
	s_and_not1_b32 exec_lo, exec_lo, s22
	s_cbranch_execnz .LBB14_19
; %bb.20:                               ;   in Loop: Header=BB14_5 Depth=1
	s_or_b32 exec_lo, exec_lo, s22
	s_branch .LBB14_2
.LBB14_21:
	s_endpgm
	.section	.rodata,"a",@progbits
	.p2align	6, 0x0
	.amdhsa_kernel _ZL20rocblas_tpmvc_kernelILi512EPKPKfPKPfS4_EvbbiT0_llT1_lllT2_li
		.amdhsa_group_segment_fixed_size 0
		.amdhsa_private_segment_fixed_size 0
		.amdhsa_kernarg_size 344
		.amdhsa_user_sgpr_count 2
		.amdhsa_user_sgpr_dispatch_ptr 0
		.amdhsa_user_sgpr_queue_ptr 0
		.amdhsa_user_sgpr_kernarg_segment_ptr 1
		.amdhsa_user_sgpr_dispatch_id 0
		.amdhsa_user_sgpr_kernarg_preload_length 0
		.amdhsa_user_sgpr_kernarg_preload_offset 0
		.amdhsa_user_sgpr_private_segment_size 0
		.amdhsa_wavefront_size32 1
		.amdhsa_uses_dynamic_stack 0
		.amdhsa_enable_private_segment 0
		.amdhsa_system_sgpr_workgroup_id_x 1
		.amdhsa_system_sgpr_workgroup_id_y 0
		.amdhsa_system_sgpr_workgroup_id_z 1
		.amdhsa_system_sgpr_workgroup_info 0
		.amdhsa_system_vgpr_workitem_id 0
		.amdhsa_next_free_vgpr 28
		.amdhsa_next_free_sgpr 32
		.amdhsa_named_barrier_count 0
		.amdhsa_reserve_vcc 1
		.amdhsa_float_round_mode_32 0
		.amdhsa_float_round_mode_16_64 0
		.amdhsa_float_denorm_mode_32 3
		.amdhsa_float_denorm_mode_16_64 3
		.amdhsa_fp16_overflow 0
		.amdhsa_memory_ordered 1
		.amdhsa_forward_progress 1
		.amdhsa_inst_pref_size 8
		.amdhsa_round_robin_scheduling 0
		.amdhsa_exception_fp_ieee_invalid_op 0
		.amdhsa_exception_fp_denorm_src 0
		.amdhsa_exception_fp_ieee_div_zero 0
		.amdhsa_exception_fp_ieee_overflow 0
		.amdhsa_exception_fp_ieee_underflow 0
		.amdhsa_exception_fp_ieee_inexact 0
		.amdhsa_exception_int_div_zero 0
	.end_amdhsa_kernel
	.section	.text._ZL20rocblas_tpmvc_kernelILi512EPKPKfPKPfS4_EvbbiT0_llT1_lllT2_li,"axG",@progbits,_ZL20rocblas_tpmvc_kernelILi512EPKPKfPKPfS4_EvbbiT0_llT1_lllT2_li,comdat
.Lfunc_end14:
	.size	_ZL20rocblas_tpmvc_kernelILi512EPKPKfPKPfS4_EvbbiT0_llT1_lllT2_li, .Lfunc_end14-_ZL20rocblas_tpmvc_kernelILi512EPKPKfPKPfS4_EvbbiT0_llT1_lllT2_li
                                        ; -- End function
	.set _ZL20rocblas_tpmvc_kernelILi512EPKPKfPKPfS4_EvbbiT0_llT1_lllT2_li.num_vgpr, 28
	.set _ZL20rocblas_tpmvc_kernelILi512EPKPKfPKPfS4_EvbbiT0_llT1_lllT2_li.num_agpr, 0
	.set _ZL20rocblas_tpmvc_kernelILi512EPKPKfPKPfS4_EvbbiT0_llT1_lllT2_li.numbered_sgpr, 32
	.set _ZL20rocblas_tpmvc_kernelILi512EPKPKfPKPfS4_EvbbiT0_llT1_lllT2_li.num_named_barrier, 0
	.set _ZL20rocblas_tpmvc_kernelILi512EPKPKfPKPfS4_EvbbiT0_llT1_lllT2_li.private_seg_size, 0
	.set _ZL20rocblas_tpmvc_kernelILi512EPKPKfPKPfS4_EvbbiT0_llT1_lllT2_li.uses_vcc, 1
	.set _ZL20rocblas_tpmvc_kernelILi512EPKPKfPKPfS4_EvbbiT0_llT1_lllT2_li.uses_flat_scratch, 0
	.set _ZL20rocblas_tpmvc_kernelILi512EPKPKfPKPfS4_EvbbiT0_llT1_lllT2_li.has_dyn_sized_stack, 0
	.set _ZL20rocblas_tpmvc_kernelILi512EPKPKfPKPfS4_EvbbiT0_llT1_lllT2_li.has_recursion, 0
	.set _ZL20rocblas_tpmvc_kernelILi512EPKPKfPKPfS4_EvbbiT0_llT1_lllT2_li.has_indirect_call, 0
	.section	.AMDGPU.csdata,"",@progbits
; Kernel info:
; codeLenInByte = 916
; TotalNumSgprs: 34
; NumVgprs: 28
; ScratchSize: 0
; MemoryBound: 0
; FloatMode: 240
; IeeeMode: 1
; LDSByteSize: 0 bytes/workgroup (compile time only)
; SGPRBlocks: 0
; VGPRBlocks: 1
; NumSGPRsForWavesPerEU: 34
; NumVGPRsForWavesPerEU: 28
; NamedBarCnt: 0
; Occupancy: 16
; WaveLimiterHint : 1
; COMPUTE_PGM_RSRC2:SCRATCH_EN: 0
; COMPUTE_PGM_RSRC2:USER_SGPR: 2
; COMPUTE_PGM_RSRC2:TRAP_HANDLER: 0
; COMPUTE_PGM_RSRC2:TGID_X_EN: 1
; COMPUTE_PGM_RSRC2:TGID_Y_EN: 0
; COMPUTE_PGM_RSRC2:TGID_Z_EN: 1
; COMPUTE_PGM_RSRC2:TIDIG_COMP_CNT: 0
	.section	.text._ZL20rocblas_tpmvn_kernelILi512EPKPKdPKPdS4_EvbbiT0_llT1_lllT2_li,"axG",@progbits,_ZL20rocblas_tpmvn_kernelILi512EPKPKdPKPdS4_EvbbiT0_llT1_lllT2_li,comdat
	.globl	_ZL20rocblas_tpmvn_kernelILi512EPKPKdPKPdS4_EvbbiT0_llT1_lllT2_li ; -- Begin function _ZL20rocblas_tpmvn_kernelILi512EPKPKdPKPdS4_EvbbiT0_llT1_lllT2_li
	.p2align	8
	.type	_ZL20rocblas_tpmvn_kernelILi512EPKPKdPKPdS4_EvbbiT0_llT1_lllT2_li,@function
_ZL20rocblas_tpmvn_kernelILi512EPKPKdPKPdS4_EvbbiT0_llT1_lllT2_li: ; @_ZL20rocblas_tpmvn_kernelILi512EPKPKdPKPdS4_EvbbiT0_llT1_lllT2_li
; %bb.0:
	s_load_b32 s33, s[0:1], 0x50
	s_bfe_u32 s2, ttmp6, 0x40014
	s_lshr_b32 s3, ttmp7, 16
	s_add_co_i32 s2, s2, 1
	s_bfe_u32 s5, ttmp6, 0x40008
	s_mul_i32 s4, s3, s2
	s_getreg_b32 s2, hwreg(HW_REG_IB_STS2, 6, 4)
	s_add_co_i32 s5, s5, s4
	s_cmp_eq_u32 s2, 0
	s_mov_b32 s17, 0
	s_cselect_b32 s16, s3, s5
	s_wait_kmcnt 0x0
	s_cmp_ge_u32 s16, s33
	s_cbranch_scc1 .LBB15_21
; %bb.1:
	s_clause 0x5
	s_load_b32 s3, s[0:1], 0x0
	s_load_b64 s[18:19], s[0:1], 0x0
	s_load_b32 s4, s[0:1], 0x64
	s_load_b64 s[22:23], s[0:1], 0x30
	s_load_b128 s[8:11], s[0:1], 0x20
	s_load_b128 s[12:15], s[0:1], 0x8
	s_wait_kmcnt 0x0
	s_bitcmp1_b32 s3, 0
	s_mov_b32 s20, s19
	s_cselect_b32 s3, -1, 0
	s_delay_alu instid0(SALU_CYCLE_1)
	s_xor_b32 s36, s3, -1
	s_bitcmp1_b32 s18, 8
	s_cselect_b32 s3, -1, 0
	s_bfe_u32 s5, ttmp6, 0x4000c
	s_and_b32 s6, ttmp6, 15
	s_add_co_i32 s5, s5, 1
	s_and_b32 s4, s4, 0xffff
	s_mul_i32 s5, ttmp9, s5
	s_xor_b32 s18, s3, -1
	s_add_co_i32 s6, s6, s5
	s_cmp_eq_u32 s2, 0
	v_cndmask_b32_e64 v28, 0, 1, s18
	s_cselect_b32 s2, ttmp9, s6
	s_ashr_i32 s21, s19, 31
	v_mad_u32 v0, s2, s4, v0
	s_load_b128 s[4:7], s[0:1], 0x40
	s_lshl_b64 s[10:11], s[10:11], 3
	s_lshl_b64 s[14:15], s[14:15], 3
	s_delay_alu instid0(VALU_DEP_1)
	v_dual_ashrrev_i32 v1, 31, v0 :: v_dual_add_nc_u32 v2, 1, v0
	s_wait_xcnt 0x0
	v_cmp_gt_i32_e64 s0, s19, v0
	v_cmp_lt_i32_e64 s1, 0, v0
	v_add_nc_u32_e32 v6, 2, v0
	v_add_nc_u64_e32 v[4:5], -1, v[0:1]
	v_ashrrev_i32_e32 v3, 31, v2
	v_mul_u64_e32 v[12:13], s[20:21], v[0:1]
	v_cmp_gt_i32_e64 s2, s19, v2
	v_ashrrev_i32_e32 v7, 31, v6
	s_delay_alu instid0(VALU_DEP_4) | instskip(SKIP_3) | instid1(VALU_DEP_4)
	v_mul_u64_e32 v[10:11], v[2:3], v[0:1]
	v_mul_u64_e32 v[8:9], v[4:5], v[0:1]
	;; [unrolled: 1-line block ×4, first 2 shown]
	v_lshrrev_b64 v[10:11], 1, v[10:11]
	s_delay_alu instid0(VALU_DEP_4) | instskip(SKIP_4) | instid1(VALU_DEP_3)
	v_lshrrev_b64 v[16:17], 1, v[8:9]
	s_wait_kmcnt 0x0
	v_lshl_add_u64 v[8:9], v[0:1], 3, s[4:5]
	v_lshl_add_u64 v[14:15], v[14:15], 3, s[10:11]
	s_lshl_b64 s[4:5], s[22:23], 3
	v_sub_nc_u64_e32 v[12:13], v[12:13], v[16:17]
	v_mov_b32_e32 v17, 0
	s_branch .LBB15_5
.LBB15_2:                               ;   in Loop: Header=BB15_5 Depth=1
	s_or_b32 exec_lo, exec_lo, s3
	s_wait_loadcnt_dscnt 0x0
	s_delay_alu instid0(VALU_DEP_1)
	v_mov_b64_e32 v[20:21], v[18:19]
.LBB15_3:                               ;   in Loop: Header=BB15_5 Depth=1
	s_mul_u64 s[22:23], s[6:7], s[16:17]
	s_wait_loadcnt_dscnt 0x0
	s_wait_xcnt 0x0
	v_lshl_add_u64 v[18:19], s[22:23], 3, v[8:9]
	global_store_b64 v[18:19], v[20:21], off
.LBB15_4:                               ;   in Loop: Header=BB15_5 Depth=1
	s_wait_xcnt 0x0
	s_or_b32 exec_lo, exec_lo, s37
	s_add_co_i32 s16, s16, 0x10000
	s_delay_alu instid0(SALU_CYCLE_1)
	s_cmp_lt_u32 s16, s33
	s_cbranch_scc0 .LBB15_21
.LBB15_5:                               ; =>This Loop Header: Depth=1
                                        ;     Child Loop BB15_11 Depth 2
                                        ;     Child Loop BB15_19 Depth 2
	s_and_saveexec_b32 s37, s0
	s_cbranch_execz .LBB15_4
; %bb.6:                                ;   in Loop: Header=BB15_5 Depth=1
	s_load_b64 s[22:23], s[8:9], s16 offset:0x0 scale_offset
	s_load_b64 s[24:25], s[12:13], s16 offset:0x0 scale_offset
	v_cmp_ne_u32_e64 s3, 1, v28
	s_and_b32 vcc_lo, exec_lo, s36
	s_mov_b32 s28, -1
                                        ; implicit-def: $vgpr20_vgpr21
	s_wait_kmcnt 0x0
	s_add_nc_u64 s[26:27], s[22:23], s[10:11]
	s_add_nc_u64 s[24:25], s[24:25], s[14:15]
	v_lshl_add_u64 v[18:19], v[4:5], 3, s[26:27]
	flat_load_b64 v[18:19], v[18:19]
	s_cbranch_vccz .LBB15_14
; %bb.7:                                ;   in Loop: Header=BB15_5 Depth=1
	s_wait_loadcnt_dscnt 0x0
	v_mov_b64_e32 v[20:21], v[18:19]
	s_and_b32 vcc_lo, exec_lo, s3
	s_cbranch_vccnz .LBB15_9
; %bb.8:                                ;   in Loop: Header=BB15_5 Depth=1
	v_lshl_add_u64 v[20:21], v[12:13], 3, s[24:25]
	flat_load_b64 v[20:21], v[20:21]
	s_wait_loadcnt_dscnt 0x0
	s_wait_xcnt 0x0
	v_mul_f64_e32 v[20:21], v[18:19], v[20:21]
.LBB15_9:                               ;   in Loop: Header=BB15_5 Depth=1
	s_wait_xcnt 0x0
	s_and_saveexec_b32 s3, s1
	s_cbranch_execz .LBB15_13
; %bb.10:                               ;   in Loop: Header=BB15_5 Depth=1
	v_mov_b32_e32 v16, v0
	s_mov_b64 s[28:29], 0
	s_mov_b32 s38, 0
	s_mov_b64 s[34:35], 0
	s_mov_b64 s[30:31], 0
.LBB15_11:                              ;   Parent Loop BB15_5 Depth=1
                                        ; =>  This Inner Loop Header: Depth=2
	s_delay_alu instid0(SALU_CYCLE_1) | instskip(SKIP_4) | instid1(VALU_DEP_1)
	v_add_nc_u64_e32 v[22:23], s[30:31], v[16:17]
	s_lshr_b64 s[40:41], s[28:29], 1
	v_add_nc_u32_e32 v16, -1, v16
	s_add_nc_u64 s[30:31], s[30:31], s[20:21]
	s_add_nc_u64 s[28:29], s[28:29], s[34:35]
	v_cmp_eq_u32_e32 vcc_lo, 0, v16
	s_delay_alu instid0(VALU_DEP_3) | instskip(SKIP_1) | instid1(SALU_CYCLE_1)
	v_sub_nc_u64_e64 v[22:23], v[22:23], s[40:41]
	s_add_nc_u64 s[40:41], s[34:35], 2
	s_mov_b64 s[34:35], s[40:41]
	s_or_b32 s38, vcc_lo, s38
	s_delay_alu instid0(VALU_DEP_1)
	v_lshl_add_u64 v[22:23], v[22:23], 3, s[24:25]
	flat_load_b64 v[24:25], v17, s[26:27]
	flat_load_b64 v[26:27], v[22:23]
	s_wait_xcnt 0x1
	s_add_nc_u64 s[26:27], s[26:27], s[4:5]
	s_wait_loadcnt_dscnt 0x0
	v_fmac_f64_e32 v[20:21], v[26:27], v[24:25]
	s_wait_xcnt 0x0
	s_and_not1_b32 exec_lo, exec_lo, s38
	s_cbranch_execnz .LBB15_11
; %bb.12:                               ;   in Loop: Header=BB15_5 Depth=1
	s_or_b32 exec_lo, exec_lo, s38
.LBB15_13:                              ;   in Loop: Header=BB15_5 Depth=1
	s_delay_alu instid0(SALU_CYCLE_1)
	s_or_b32 exec_lo, exec_lo, s3
	s_mov_b32 s28, 0
.LBB15_14:                              ;   in Loop: Header=BB15_5 Depth=1
	s_delay_alu instid0(SALU_CYCLE_1)
	s_and_b32 vcc_lo, exec_lo, s28
	s_cbranch_vccz .LBB15_3
; %bb.15:                               ;   in Loop: Header=BB15_5 Depth=1
	s_and_not1_b32 vcc_lo, exec_lo, s18
	s_cbranch_vccnz .LBB15_17
; %bb.16:                               ;   in Loop: Header=BB15_5 Depth=1
	v_lshl_add_u64 v[20:21], v[10:11], 3, s[24:25]
	s_delay_alu instid0(VALU_DEP_1)
	v_lshl_add_u64 v[20:21], v[0:1], 3, v[20:21]
	flat_load_b64 v[20:21], v[20:21]
	s_wait_loadcnt_dscnt 0x0
	s_wait_xcnt 0x1
	v_mul_f64_e32 v[18:19], v[18:19], v[20:21]
.LBB15_17:                              ;   in Loop: Header=BB15_5 Depth=1
	s_wait_xcnt 0x0
	s_and_saveexec_b32 s3, s2
	s_cbranch_execz .LBB15_2
; %bb.18:                               ;   in Loop: Header=BB15_5 Depth=1
	v_add_nc_u64_e32 v[22:23], s[22:23], v[14:15]
	v_mov_b64_e32 v[26:27], v[2:3]
	v_mov_b64_e32 v[24:25], v[6:7]
	v_lshl_add_u64 v[20:21], v[0:1], 3, s[24:25]
	s_mov_b32 s22, 0
.LBB15_19:                              ;   Parent Loop BB15_5 Depth=1
                                        ; =>  This Inner Loop Header: Depth=2
	s_delay_alu instid0(VALU_DEP_2) | instskip(SKIP_2) | instid1(VALU_DEP_2)
	v_mul_u64_e32 v[30:31], v[24:25], v[26:27]
	v_add_nc_u64_e32 v[26:27], 1, v[26:27]
	v_add_nc_u64_e32 v[24:25], 1, v[24:25]
	v_cmp_le_i32_e32 vcc_lo, s19, v26
	s_or_b32 s22, vcc_lo, s22
	s_delay_alu instid0(VALU_DEP_4) | instskip(NEXT) | instid1(VALU_DEP_1)
	v_lshlrev_b64_e32 v[30:31], 2, v[30:31]
	v_and_b32_e32 v30, -8, v30
	s_delay_alu instid0(VALU_DEP_1)
	v_add_nc_u64_e32 v[30:31], v[20:21], v[30:31]
	flat_load_b64 v[32:33], v[22:23]
	flat_load_b64 v[34:35], v[30:31]
	s_wait_xcnt 0x1
	v_add_nc_u64_e32 v[22:23], s[4:5], v[22:23]
	s_wait_loadcnt_dscnt 0x0
	v_fmac_f64_e32 v[18:19], v[34:35], v[32:33]
	s_wait_xcnt 0x0
	s_and_not1_b32 exec_lo, exec_lo, s22
	s_cbranch_execnz .LBB15_19
; %bb.20:                               ;   in Loop: Header=BB15_5 Depth=1
	s_or_b32 exec_lo, exec_lo, s22
	s_branch .LBB15_2
.LBB15_21:
	s_endpgm
	.section	.rodata,"a",@progbits
	.p2align	6, 0x0
	.amdhsa_kernel _ZL20rocblas_tpmvn_kernelILi512EPKPKdPKPdS4_EvbbiT0_llT1_lllT2_li
		.amdhsa_group_segment_fixed_size 0
		.amdhsa_private_segment_fixed_size 0
		.amdhsa_kernarg_size 344
		.amdhsa_user_sgpr_count 2
		.amdhsa_user_sgpr_dispatch_ptr 0
		.amdhsa_user_sgpr_queue_ptr 0
		.amdhsa_user_sgpr_kernarg_segment_ptr 1
		.amdhsa_user_sgpr_dispatch_id 0
		.amdhsa_user_sgpr_kernarg_preload_length 0
		.amdhsa_user_sgpr_kernarg_preload_offset 0
		.amdhsa_user_sgpr_private_segment_size 0
		.amdhsa_wavefront_size32 1
		.amdhsa_uses_dynamic_stack 0
		.amdhsa_enable_private_segment 0
		.amdhsa_system_sgpr_workgroup_id_x 1
		.amdhsa_system_sgpr_workgroup_id_y 0
		.amdhsa_system_sgpr_workgroup_id_z 1
		.amdhsa_system_sgpr_workgroup_info 0
		.amdhsa_system_vgpr_workitem_id 0
		.amdhsa_next_free_vgpr 36
		.amdhsa_next_free_sgpr 42
		.amdhsa_named_barrier_count 0
		.amdhsa_reserve_vcc 1
		.amdhsa_float_round_mode_32 0
		.amdhsa_float_round_mode_16_64 0
		.amdhsa_float_denorm_mode_32 3
		.amdhsa_float_denorm_mode_16_64 3
		.amdhsa_fp16_overflow 0
		.amdhsa_memory_ordered 1
		.amdhsa_forward_progress 1
		.amdhsa_inst_pref_size 8
		.amdhsa_round_robin_scheduling 0
		.amdhsa_exception_fp_ieee_invalid_op 0
		.amdhsa_exception_fp_denorm_src 0
		.amdhsa_exception_fp_ieee_div_zero 0
		.amdhsa_exception_fp_ieee_overflow 0
		.amdhsa_exception_fp_ieee_underflow 0
		.amdhsa_exception_fp_ieee_inexact 0
		.amdhsa_exception_int_div_zero 0
	.end_amdhsa_kernel
	.section	.text._ZL20rocblas_tpmvn_kernelILi512EPKPKdPKPdS4_EvbbiT0_llT1_lllT2_li,"axG",@progbits,_ZL20rocblas_tpmvn_kernelILi512EPKPKdPKPdS4_EvbbiT0_llT1_lllT2_li,comdat
.Lfunc_end15:
	.size	_ZL20rocblas_tpmvn_kernelILi512EPKPKdPKPdS4_EvbbiT0_llT1_lllT2_li, .Lfunc_end15-_ZL20rocblas_tpmvn_kernelILi512EPKPKdPKPdS4_EvbbiT0_llT1_lllT2_li
                                        ; -- End function
	.set _ZL20rocblas_tpmvn_kernelILi512EPKPKdPKPdS4_EvbbiT0_llT1_lllT2_li.num_vgpr, 36
	.set _ZL20rocblas_tpmvn_kernelILi512EPKPKdPKPdS4_EvbbiT0_llT1_lllT2_li.num_agpr, 0
	.set _ZL20rocblas_tpmvn_kernelILi512EPKPKdPKPdS4_EvbbiT0_llT1_lllT2_li.numbered_sgpr, 42
	.set _ZL20rocblas_tpmvn_kernelILi512EPKPKdPKPdS4_EvbbiT0_llT1_lllT2_li.num_named_barrier, 0
	.set _ZL20rocblas_tpmvn_kernelILi512EPKPKdPKPdS4_EvbbiT0_llT1_lllT2_li.private_seg_size, 0
	.set _ZL20rocblas_tpmvn_kernelILi512EPKPKdPKPdS4_EvbbiT0_llT1_lllT2_li.uses_vcc, 1
	.set _ZL20rocblas_tpmvn_kernelILi512EPKPKdPKPdS4_EvbbiT0_llT1_lllT2_li.uses_flat_scratch, 0
	.set _ZL20rocblas_tpmvn_kernelILi512EPKPKdPKPdS4_EvbbiT0_llT1_lllT2_li.has_dyn_sized_stack, 0
	.set _ZL20rocblas_tpmvn_kernelILi512EPKPKdPKPdS4_EvbbiT0_llT1_lllT2_li.has_recursion, 0
	.set _ZL20rocblas_tpmvn_kernelILi512EPKPKdPKPdS4_EvbbiT0_llT1_lllT2_li.has_indirect_call, 0
	.section	.AMDGPU.csdata,"",@progbits
; Kernel info:
; codeLenInByte = 944
; TotalNumSgprs: 44
; NumVgprs: 36
; ScratchSize: 0
; MemoryBound: 0
; FloatMode: 240
; IeeeMode: 1
; LDSByteSize: 0 bytes/workgroup (compile time only)
; SGPRBlocks: 0
; VGPRBlocks: 2
; NumSGPRsForWavesPerEU: 44
; NumVGPRsForWavesPerEU: 36
; NamedBarCnt: 0
; Occupancy: 16
; WaveLimiterHint : 1
; COMPUTE_PGM_RSRC2:SCRATCH_EN: 0
; COMPUTE_PGM_RSRC2:USER_SGPR: 2
; COMPUTE_PGM_RSRC2:TRAP_HANDLER: 0
; COMPUTE_PGM_RSRC2:TGID_X_EN: 1
; COMPUTE_PGM_RSRC2:TGID_Y_EN: 0
; COMPUTE_PGM_RSRC2:TGID_Z_EN: 1
; COMPUTE_PGM_RSRC2:TIDIG_COMP_CNT: 0
	.section	.text._ZL20rocblas_tpmvt_kernelILi512EPKPKdPKPdS4_EvbbiT0_llT1_lllT2_li,"axG",@progbits,_ZL20rocblas_tpmvt_kernelILi512EPKPKdPKPdS4_EvbbiT0_llT1_lllT2_li,comdat
	.globl	_ZL20rocblas_tpmvt_kernelILi512EPKPKdPKPdS4_EvbbiT0_llT1_lllT2_li ; -- Begin function _ZL20rocblas_tpmvt_kernelILi512EPKPKdPKPdS4_EvbbiT0_llT1_lllT2_li
	.p2align	8
	.type	_ZL20rocblas_tpmvt_kernelILi512EPKPKdPKPdS4_EvbbiT0_llT1_lllT2_li,@function
_ZL20rocblas_tpmvt_kernelILi512EPKPKdPKPdS4_EvbbiT0_llT1_lllT2_li: ; @_ZL20rocblas_tpmvt_kernelILi512EPKPKdPKPdS4_EvbbiT0_llT1_lllT2_li
; %bb.0:
	s_load_b32 s28, s[0:1], 0x50
	s_bfe_u32 s2, ttmp6, 0x40014
	s_lshr_b32 s3, ttmp7, 16
	s_add_co_i32 s2, s2, 1
	s_bfe_u32 s5, ttmp6, 0x40008
	s_mul_i32 s4, s3, s2
	s_getreg_b32 s2, hwreg(HW_REG_IB_STS2, 6, 4)
	s_add_co_i32 s5, s5, s4
	s_cmp_eq_u32 s2, 0
	s_mov_b32 s17, 0
	s_cselect_b32 s16, s3, s5
	s_wait_kmcnt 0x0
	s_cmp_ge_u32 s16, s28
	s_cbranch_scc1 .LBB16_21
; %bb.1:
	s_clause 0x4
	s_load_b32 s3, s[0:1], 0x0
	s_load_b64 s[18:19], s[0:1], 0x0
	s_load_b32 s4, s[0:1], 0x64
	s_load_b128 s[8:11], s[0:1], 0x20
	s_load_b64 s[20:21], s[0:1], 0x30
	v_mov_b32_e32 v3, 0
	s_wait_kmcnt 0x0
	s_bitcmp1_b32 s3, 0
	s_cselect_b32 s3, -1, 0
	s_delay_alu instid0(SALU_CYCLE_1)
	s_xor_b32 s29, s3, -1
	s_bitcmp1_b32 s18, 8
	s_cselect_b32 s3, -1, 0
	s_bfe_u32 s5, ttmp6, 0x4000c
	s_and_b32 s6, ttmp6, 15
	s_add_co_i32 s5, s5, 1
	s_and_b32 s4, s4, 0xffff
	s_mul_i32 s5, ttmp9, s5
	s_xor_b32 s18, s3, -1
	s_add_co_i32 s6, s6, s5
	s_cmp_eq_u32 s2, 0
	s_cselect_b32 s2, ttmp9, s6
	s_ashr_i32 s3, s19, 31
	v_mad_u32 v0, s2, s4, v0
	s_load_b128 s[4:7], s[0:1], 0x8
	s_mov_b32 s2, s19
	s_lshl_b64 s[10:11], s[10:11], 3
	s_lshl_b64 s[12:13], s[2:3], 3
	s_delay_alu instid0(SALU_CYCLE_1) | instskip(SKIP_1) | instid1(VALU_DEP_1)
	s_add_nc_u64 s[22:23], s[12:13], -8
	s_load_b128 s[12:15], s[0:1], 0x40
	v_dual_ashrrev_i32 v1, 31, v0 :: v_dual_add_nc_u32 v4, 1, v0
	s_wait_xcnt 0x0
	v_cmp_gt_i32_e64 s0, s19, v0
	s_delay_alu instid0(VALU_DEP_2)
	v_add_nc_u64_e32 v[6:7], -1, v[0:1]
	v_mul_u64_e32 v[10:11], s[2:3], v[0:1]
	v_dual_mov_b32 v2, v4 :: v_dual_ashrrev_i32 v5, 31, v4
	v_cmp_gt_i32_e64 s1, s19, v4
	s_wait_kmcnt 0x0
	s_lshl_b64 s[6:7], s[6:7], 3
	v_cmp_lt_i32_e64 s2, 0, v0
	v_mul_u64_e32 v[8:9], v[6:7], v[0:1]
	v_mad_nc_u64_u32 v[12:13], s22, v0, s[6:7]
	v_mul_u64_e32 v[14:15], v[4:5], v[0:1]
	v_mul_u64_e32 v[16:17], v[2:3], v[0:1]
	;; [unrolled: 1-line block ×4, first 2 shown]
	v_mad_u32 v2, s23, v0, v13
	s_delay_alu instid0(VALU_DEP_1) | instskip(SKIP_2) | instid1(VALU_DEP_3)
	v_mad_u32 v13, s22, v1, v2
	v_cndmask_b32_e64 v2, 0, 1, s18
	v_lshrrev_b64 v[20:21], 1, v[8:9]
	v_lshl_add_u64 v[22:23], v[4:5], 3, v[12:13]
	v_lshrrev_b64 v[12:13], 1, v[16:17]
	v_lshl_add_u64 v[18:19], v[18:19], 3, s[10:11]
	s_delay_alu instid0(VALU_DEP_4) | instskip(SKIP_4) | instid1(VALU_DEP_3)
	v_sub_nc_u64_e32 v[8:9], v[10:11], v[20:21]
	v_lshlrev_b64_e32 v[20:21], 3, v[20:21]
	v_lshrrev_b64 v[10:11], 1, v[14:15]
	v_lshl_add_u64 v[14:15], v[0:1], 3, s[12:13]
	s_lshl_b64 s[12:13], s[20:21], 3
	v_sub_nc_u64_e32 v[16:17], v[22:23], v[20:21]
	s_branch .LBB16_5
.LBB16_2:                               ;   in Loop: Header=BB16_5 Depth=1
	s_or_b32 exec_lo, exec_lo, s3
	s_wait_loadcnt_dscnt 0x0
	s_delay_alu instid0(VALU_DEP_1)
	v_mov_b64_e32 v[22:23], v[20:21]
.LBB16_3:                               ;   in Loop: Header=BB16_5 Depth=1
	s_mul_u64 s[20:21], s[14:15], s[16:17]
	s_wait_loadcnt_dscnt 0x0
	s_wait_xcnt 0x0
	v_lshl_add_u64 v[20:21], s[20:21], 3, v[14:15]
	global_store_b64 v[20:21], v[22:23], off
.LBB16_4:                               ;   in Loop: Header=BB16_5 Depth=1
	s_wait_xcnt 0x0
	s_or_b32 exec_lo, exec_lo, s30
	s_add_co_i32 s16, s16, 0x10000
	s_delay_alu instid0(SALU_CYCLE_1)
	s_cmp_lt_u32 s16, s28
	s_cbranch_scc0 .LBB16_21
.LBB16_5:                               ; =>This Loop Header: Depth=1
                                        ;     Child Loop BB16_11 Depth 2
                                        ;     Child Loop BB16_19 Depth 2
	s_and_saveexec_b32 s30, s0
	s_cbranch_execz .LBB16_4
; %bb.6:                                ;   in Loop: Header=BB16_5 Depth=1
	s_load_b64 s[24:25], s[8:9], s16 offset:0x0 scale_offset
	s_load_b64 s[26:27], s[4:5], s16 offset:0x0 scale_offset
	v_cmp_ne_u32_e64 s3, 1, v2
	s_and_b32 vcc_lo, exec_lo, s29
	s_mov_b32 s31, -1
                                        ; implicit-def: $vgpr22_vgpr23
	s_wait_kmcnt 0x0
	s_add_nc_u64 s[20:21], s[24:25], s[10:11]
	s_add_nc_u64 s[22:23], s[26:27], s[6:7]
	v_lshl_add_u64 v[20:21], v[6:7], 3, s[20:21]
	flat_load_b64 v[20:21], v[20:21]
	s_cbranch_vccz .LBB16_14
; %bb.7:                                ;   in Loop: Header=BB16_5 Depth=1
	s_wait_loadcnt_dscnt 0x0
	v_mov_b64_e32 v[22:23], v[20:21]
	s_and_b32 vcc_lo, exec_lo, s3
	s_cbranch_vccnz .LBB16_9
; %bb.8:                                ;   in Loop: Header=BB16_5 Depth=1
	v_lshl_add_u64 v[22:23], v[8:9], 3, s[22:23]
	flat_load_b64 v[22:23], v[22:23]
	s_wait_loadcnt_dscnt 0x0
	s_wait_xcnt 0x0
	v_mul_f64_e32 v[22:23], v[20:21], v[22:23]
.LBB16_9:                               ;   in Loop: Header=BB16_5 Depth=1
	s_wait_xcnt 0x0
	s_and_saveexec_b32 s3, s1
	s_cbranch_execz .LBB16_13
; %bb.10:                               ;   in Loop: Header=BB16_5 Depth=1
	v_add_nc_u64_e32 v[24:25], s[24:25], v[18:19]
	v_add_nc_u64_e32 v[26:27], s[26:27], v[16:17]
	v_mov_b32_e32 v5, v4
	s_mov_b32 s24, 0
.LBB16_11:                              ;   Parent Loop BB16_5 Depth=1
                                        ; =>  This Inner Loop Header: Depth=2
	flat_load_b64 v[28:29], v[26:27]
	flat_load_b64 v[30:31], v[24:25]
	v_add_nc_u32_e32 v5, 1, v5
	s_wait_xcnt 0x0
	v_add_nc_u64_e32 v[24:25], s[12:13], v[24:25]
	v_add_nc_u64_e32 v[26:27], 8, v[26:27]
	s_delay_alu instid0(VALU_DEP_3)
	v_cmp_le_i32_e32 vcc_lo, s19, v5
	s_or_b32 s24, vcc_lo, s24
	s_wait_loadcnt_dscnt 0x0
	v_fmac_f64_e32 v[22:23], v[28:29], v[30:31]
	s_and_not1_b32 exec_lo, exec_lo, s24
	s_cbranch_execnz .LBB16_11
; %bb.12:                               ;   in Loop: Header=BB16_5 Depth=1
	s_or_b32 exec_lo, exec_lo, s24
.LBB16_13:                              ;   in Loop: Header=BB16_5 Depth=1
	s_delay_alu instid0(SALU_CYCLE_1)
	s_or_b32 exec_lo, exec_lo, s3
	s_mov_b32 s31, 0
.LBB16_14:                              ;   in Loop: Header=BB16_5 Depth=1
	s_delay_alu instid0(SALU_CYCLE_1)
	s_and_b32 vcc_lo, exec_lo, s31
	s_cbranch_vccz .LBB16_3
; %bb.15:                               ;   in Loop: Header=BB16_5 Depth=1
	s_and_not1_b32 vcc_lo, exec_lo, s18
	s_cbranch_vccnz .LBB16_17
; %bb.16:                               ;   in Loop: Header=BB16_5 Depth=1
	v_lshl_add_u64 v[22:23], v[10:11], 3, s[22:23]
	s_delay_alu instid0(VALU_DEP_1)
	v_lshl_add_u64 v[22:23], v[0:1], 3, v[22:23]
	flat_load_b64 v[22:23], v[22:23]
	s_wait_loadcnt_dscnt 0x0
	s_wait_xcnt 0x1
	v_mul_f64_e32 v[20:21], v[20:21], v[22:23]
.LBB16_17:                              ;   in Loop: Header=BB16_5 Depth=1
	s_wait_xcnt 0x0
	s_and_saveexec_b32 s3, s2
	s_cbranch_execz .LBB16_2
; %bb.18:                               ;   in Loop: Header=BB16_5 Depth=1
	v_lshl_add_u64 v[22:23], v[12:13], 3, s[22:23]
	v_mov_b32_e32 v5, v0
	s_mov_b32 s22, 0
.LBB16_19:                              ;   Parent Loop BB16_5 Depth=1
                                        ; =>  This Inner Loop Header: Depth=2
	flat_load_b64 v[24:25], v[22:23]
	flat_load_b64 v[26:27], v3, s[20:21]
	v_add_nc_u32_e32 v5, -1, v5
	s_wait_xcnt 0x1
	v_add_nc_u64_e32 v[22:23], 8, v[22:23]
	s_wait_xcnt 0x0
	s_add_nc_u64 s[20:21], s[20:21], s[12:13]
	v_cmp_eq_u32_e32 vcc_lo, 0, v5
	s_or_b32 s22, vcc_lo, s22
	s_wait_loadcnt_dscnt 0x0
	v_fmac_f64_e32 v[20:21], v[24:25], v[26:27]
	s_and_not1_b32 exec_lo, exec_lo, s22
	s_cbranch_execnz .LBB16_19
; %bb.20:                               ;   in Loop: Header=BB16_5 Depth=1
	s_or_b32 exec_lo, exec_lo, s22
	s_branch .LBB16_2
.LBB16_21:
	s_endpgm
	.section	.rodata,"a",@progbits
	.p2align	6, 0x0
	.amdhsa_kernel _ZL20rocblas_tpmvt_kernelILi512EPKPKdPKPdS4_EvbbiT0_llT1_lllT2_li
		.amdhsa_group_segment_fixed_size 0
		.amdhsa_private_segment_fixed_size 0
		.amdhsa_kernarg_size 344
		.amdhsa_user_sgpr_count 2
		.amdhsa_user_sgpr_dispatch_ptr 0
		.amdhsa_user_sgpr_queue_ptr 0
		.amdhsa_user_sgpr_kernarg_segment_ptr 1
		.amdhsa_user_sgpr_dispatch_id 0
		.amdhsa_user_sgpr_kernarg_preload_length 0
		.amdhsa_user_sgpr_kernarg_preload_offset 0
		.amdhsa_user_sgpr_private_segment_size 0
		.amdhsa_wavefront_size32 1
		.amdhsa_uses_dynamic_stack 0
		.amdhsa_enable_private_segment 0
		.amdhsa_system_sgpr_workgroup_id_x 1
		.amdhsa_system_sgpr_workgroup_id_y 0
		.amdhsa_system_sgpr_workgroup_id_z 1
		.amdhsa_system_sgpr_workgroup_info 0
		.amdhsa_system_vgpr_workitem_id 0
		.amdhsa_next_free_vgpr 32
		.amdhsa_next_free_sgpr 32
		.amdhsa_named_barrier_count 0
		.amdhsa_reserve_vcc 1
		.amdhsa_float_round_mode_32 0
		.amdhsa_float_round_mode_16_64 0
		.amdhsa_float_denorm_mode_32 3
		.amdhsa_float_denorm_mode_16_64 3
		.amdhsa_fp16_overflow 0
		.amdhsa_memory_ordered 1
		.amdhsa_forward_progress 1
		.amdhsa_inst_pref_size 8
		.amdhsa_round_robin_scheduling 0
		.amdhsa_exception_fp_ieee_invalid_op 0
		.amdhsa_exception_fp_denorm_src 0
		.amdhsa_exception_fp_ieee_div_zero 0
		.amdhsa_exception_fp_ieee_overflow 0
		.amdhsa_exception_fp_ieee_underflow 0
		.amdhsa_exception_fp_ieee_inexact 0
		.amdhsa_exception_int_div_zero 0
	.end_amdhsa_kernel
	.section	.text._ZL20rocblas_tpmvt_kernelILi512EPKPKdPKPdS4_EvbbiT0_llT1_lllT2_li,"axG",@progbits,_ZL20rocblas_tpmvt_kernelILi512EPKPKdPKPdS4_EvbbiT0_llT1_lllT2_li,comdat
.Lfunc_end16:
	.size	_ZL20rocblas_tpmvt_kernelILi512EPKPKdPKPdS4_EvbbiT0_llT1_lllT2_li, .Lfunc_end16-_ZL20rocblas_tpmvt_kernelILi512EPKPKdPKPdS4_EvbbiT0_llT1_lllT2_li
                                        ; -- End function
	.set _ZL20rocblas_tpmvt_kernelILi512EPKPKdPKPdS4_EvbbiT0_llT1_lllT2_li.num_vgpr, 32
	.set _ZL20rocblas_tpmvt_kernelILi512EPKPKdPKPdS4_EvbbiT0_llT1_lllT2_li.num_agpr, 0
	.set _ZL20rocblas_tpmvt_kernelILi512EPKPKdPKPdS4_EvbbiT0_llT1_lllT2_li.numbered_sgpr, 32
	.set _ZL20rocblas_tpmvt_kernelILi512EPKPKdPKPdS4_EvbbiT0_llT1_lllT2_li.num_named_barrier, 0
	.set _ZL20rocblas_tpmvt_kernelILi512EPKPKdPKPdS4_EvbbiT0_llT1_lllT2_li.private_seg_size, 0
	.set _ZL20rocblas_tpmvt_kernelILi512EPKPKdPKPdS4_EvbbiT0_llT1_lllT2_li.uses_vcc, 1
	.set _ZL20rocblas_tpmvt_kernelILi512EPKPKdPKPdS4_EvbbiT0_llT1_lllT2_li.uses_flat_scratch, 0
	.set _ZL20rocblas_tpmvt_kernelILi512EPKPKdPKPdS4_EvbbiT0_llT1_lllT2_li.has_dyn_sized_stack, 0
	.set _ZL20rocblas_tpmvt_kernelILi512EPKPKdPKPdS4_EvbbiT0_llT1_lllT2_li.has_recursion, 0
	.set _ZL20rocblas_tpmvt_kernelILi512EPKPKdPKPdS4_EvbbiT0_llT1_lllT2_li.has_indirect_call, 0
	.section	.AMDGPU.csdata,"",@progbits
; Kernel info:
; codeLenInByte = 916
; TotalNumSgprs: 34
; NumVgprs: 32
; ScratchSize: 0
; MemoryBound: 0
; FloatMode: 240
; IeeeMode: 1
; LDSByteSize: 0 bytes/workgroup (compile time only)
; SGPRBlocks: 0
; VGPRBlocks: 1
; NumSGPRsForWavesPerEU: 34
; NumVGPRsForWavesPerEU: 32
; NamedBarCnt: 0
; Occupancy: 16
; WaveLimiterHint : 1
; COMPUTE_PGM_RSRC2:SCRATCH_EN: 0
; COMPUTE_PGM_RSRC2:USER_SGPR: 2
; COMPUTE_PGM_RSRC2:TRAP_HANDLER: 0
; COMPUTE_PGM_RSRC2:TGID_X_EN: 1
; COMPUTE_PGM_RSRC2:TGID_Y_EN: 0
; COMPUTE_PGM_RSRC2:TGID_Z_EN: 1
; COMPUTE_PGM_RSRC2:TIDIG_COMP_CNT: 0
	.section	.text._ZL20rocblas_tpmvc_kernelILi512EPKPKdPKPdS4_EvbbiT0_llT1_lllT2_li,"axG",@progbits,_ZL20rocblas_tpmvc_kernelILi512EPKPKdPKPdS4_EvbbiT0_llT1_lllT2_li,comdat
	.globl	_ZL20rocblas_tpmvc_kernelILi512EPKPKdPKPdS4_EvbbiT0_llT1_lllT2_li ; -- Begin function _ZL20rocblas_tpmvc_kernelILi512EPKPKdPKPdS4_EvbbiT0_llT1_lllT2_li
	.p2align	8
	.type	_ZL20rocblas_tpmvc_kernelILi512EPKPKdPKPdS4_EvbbiT0_llT1_lllT2_li,@function
_ZL20rocblas_tpmvc_kernelILi512EPKPKdPKPdS4_EvbbiT0_llT1_lllT2_li: ; @_ZL20rocblas_tpmvc_kernelILi512EPKPKdPKPdS4_EvbbiT0_llT1_lllT2_li
; %bb.0:
	s_load_b32 s28, s[0:1], 0x50
	s_bfe_u32 s2, ttmp6, 0x40014
	s_lshr_b32 s3, ttmp7, 16
	s_add_co_i32 s2, s2, 1
	s_bfe_u32 s5, ttmp6, 0x40008
	s_mul_i32 s4, s3, s2
	s_getreg_b32 s2, hwreg(HW_REG_IB_STS2, 6, 4)
	s_add_co_i32 s5, s5, s4
	s_cmp_eq_u32 s2, 0
	s_mov_b32 s17, 0
	s_cselect_b32 s16, s3, s5
	s_wait_kmcnt 0x0
	s_cmp_ge_u32 s16, s28
	s_cbranch_scc1 .LBB17_21
; %bb.1:
	s_clause 0x4
	s_load_b32 s3, s[0:1], 0x0
	s_load_b64 s[18:19], s[0:1], 0x0
	s_load_b32 s4, s[0:1], 0x64
	s_load_b128 s[8:11], s[0:1], 0x20
	s_load_b64 s[20:21], s[0:1], 0x30
	v_mov_b32_e32 v3, 0
	s_wait_kmcnt 0x0
	s_bitcmp1_b32 s3, 0
	s_cselect_b32 s3, -1, 0
	s_delay_alu instid0(SALU_CYCLE_1)
	s_xor_b32 s29, s3, -1
	s_bitcmp1_b32 s18, 8
	s_cselect_b32 s3, -1, 0
	s_bfe_u32 s5, ttmp6, 0x4000c
	s_and_b32 s6, ttmp6, 15
	s_add_co_i32 s5, s5, 1
	s_and_b32 s4, s4, 0xffff
	s_mul_i32 s5, ttmp9, s5
	s_xor_b32 s18, s3, -1
	s_add_co_i32 s6, s6, s5
	s_cmp_eq_u32 s2, 0
	s_cselect_b32 s2, ttmp9, s6
	s_ashr_i32 s3, s19, 31
	v_mad_u32 v0, s2, s4, v0
	s_load_b128 s[4:7], s[0:1], 0x8
	s_mov_b32 s2, s19
	s_lshl_b64 s[10:11], s[10:11], 3
	s_lshl_b64 s[12:13], s[2:3], 3
	s_delay_alu instid0(SALU_CYCLE_1) | instskip(SKIP_1) | instid1(VALU_DEP_1)
	s_add_nc_u64 s[22:23], s[12:13], -8
	s_load_b128 s[12:15], s[0:1], 0x40
	v_dual_ashrrev_i32 v1, 31, v0 :: v_dual_add_nc_u32 v4, 1, v0
	s_wait_xcnt 0x0
	v_cmp_gt_i32_e64 s0, s19, v0
	s_delay_alu instid0(VALU_DEP_2)
	v_add_nc_u64_e32 v[6:7], -1, v[0:1]
	v_mul_u64_e32 v[10:11], s[2:3], v[0:1]
	v_dual_mov_b32 v2, v4 :: v_dual_ashrrev_i32 v5, 31, v4
	v_cmp_gt_i32_e64 s1, s19, v4
	s_wait_kmcnt 0x0
	s_lshl_b64 s[6:7], s[6:7], 3
	v_cmp_lt_i32_e64 s2, 0, v0
	v_mul_u64_e32 v[8:9], v[6:7], v[0:1]
	v_mad_nc_u64_u32 v[12:13], s22, v0, s[6:7]
	v_mul_u64_e32 v[14:15], v[4:5], v[0:1]
	v_mul_u64_e32 v[16:17], v[2:3], v[0:1]
	;; [unrolled: 1-line block ×4, first 2 shown]
	v_mad_u32 v2, s23, v0, v13
	s_delay_alu instid0(VALU_DEP_1) | instskip(SKIP_2) | instid1(VALU_DEP_3)
	v_mad_u32 v13, s22, v1, v2
	v_cndmask_b32_e64 v2, 0, 1, s18
	v_lshrrev_b64 v[20:21], 1, v[8:9]
	v_lshl_add_u64 v[22:23], v[4:5], 3, v[12:13]
	v_lshrrev_b64 v[12:13], 1, v[16:17]
	v_lshl_add_u64 v[18:19], v[18:19], 3, s[10:11]
	s_delay_alu instid0(VALU_DEP_4) | instskip(SKIP_4) | instid1(VALU_DEP_3)
	v_sub_nc_u64_e32 v[8:9], v[10:11], v[20:21]
	v_lshlrev_b64_e32 v[20:21], 3, v[20:21]
	v_lshrrev_b64 v[10:11], 1, v[14:15]
	v_lshl_add_u64 v[14:15], v[0:1], 3, s[12:13]
	s_lshl_b64 s[12:13], s[20:21], 3
	v_sub_nc_u64_e32 v[16:17], v[22:23], v[20:21]
	s_branch .LBB17_5
.LBB17_2:                               ;   in Loop: Header=BB17_5 Depth=1
	s_or_b32 exec_lo, exec_lo, s3
	s_wait_loadcnt_dscnt 0x0
	s_delay_alu instid0(VALU_DEP_1)
	v_mov_b64_e32 v[22:23], v[20:21]
.LBB17_3:                               ;   in Loop: Header=BB17_5 Depth=1
	s_mul_u64 s[20:21], s[14:15], s[16:17]
	s_wait_loadcnt_dscnt 0x0
	s_wait_xcnt 0x0
	v_lshl_add_u64 v[20:21], s[20:21], 3, v[14:15]
	global_store_b64 v[20:21], v[22:23], off
.LBB17_4:                               ;   in Loop: Header=BB17_5 Depth=1
	s_wait_xcnt 0x0
	s_or_b32 exec_lo, exec_lo, s30
	s_add_co_i32 s16, s16, 0x10000
	s_delay_alu instid0(SALU_CYCLE_1)
	s_cmp_lt_u32 s16, s28
	s_cbranch_scc0 .LBB17_21
.LBB17_5:                               ; =>This Loop Header: Depth=1
                                        ;     Child Loop BB17_11 Depth 2
                                        ;     Child Loop BB17_19 Depth 2
	s_and_saveexec_b32 s30, s0
	s_cbranch_execz .LBB17_4
; %bb.6:                                ;   in Loop: Header=BB17_5 Depth=1
	s_load_b64 s[24:25], s[8:9], s16 offset:0x0 scale_offset
	s_load_b64 s[26:27], s[4:5], s16 offset:0x0 scale_offset
	v_cmp_ne_u32_e64 s3, 1, v2
	s_and_b32 vcc_lo, exec_lo, s29
	s_mov_b32 s31, -1
                                        ; implicit-def: $vgpr22_vgpr23
	s_wait_kmcnt 0x0
	s_add_nc_u64 s[20:21], s[24:25], s[10:11]
	s_add_nc_u64 s[22:23], s[26:27], s[6:7]
	v_lshl_add_u64 v[20:21], v[6:7], 3, s[20:21]
	flat_load_b64 v[20:21], v[20:21]
	s_cbranch_vccz .LBB17_14
; %bb.7:                                ;   in Loop: Header=BB17_5 Depth=1
	s_wait_loadcnt_dscnt 0x0
	v_mov_b64_e32 v[22:23], v[20:21]
	s_and_b32 vcc_lo, exec_lo, s3
	s_cbranch_vccnz .LBB17_9
; %bb.8:                                ;   in Loop: Header=BB17_5 Depth=1
	v_lshl_add_u64 v[22:23], v[8:9], 3, s[22:23]
	flat_load_b64 v[22:23], v[22:23]
	s_wait_loadcnt_dscnt 0x0
	s_wait_xcnt 0x0
	v_mul_f64_e32 v[22:23], v[20:21], v[22:23]
.LBB17_9:                               ;   in Loop: Header=BB17_5 Depth=1
	s_wait_xcnt 0x0
	s_and_saveexec_b32 s3, s1
	s_cbranch_execz .LBB17_13
; %bb.10:                               ;   in Loop: Header=BB17_5 Depth=1
	v_add_nc_u64_e32 v[24:25], s[24:25], v[18:19]
	v_add_nc_u64_e32 v[26:27], s[26:27], v[16:17]
	v_mov_b32_e32 v5, v4
	s_mov_b32 s24, 0
.LBB17_11:                              ;   Parent Loop BB17_5 Depth=1
                                        ; =>  This Inner Loop Header: Depth=2
	flat_load_b64 v[28:29], v[26:27]
	flat_load_b64 v[30:31], v[24:25]
	v_add_nc_u32_e32 v5, 1, v5
	s_wait_xcnt 0x0
	v_add_nc_u64_e32 v[24:25], s[12:13], v[24:25]
	v_add_nc_u64_e32 v[26:27], 8, v[26:27]
	s_delay_alu instid0(VALU_DEP_3)
	v_cmp_le_i32_e32 vcc_lo, s19, v5
	s_or_b32 s24, vcc_lo, s24
	s_wait_loadcnt_dscnt 0x0
	v_fmac_f64_e32 v[22:23], v[28:29], v[30:31]
	s_and_not1_b32 exec_lo, exec_lo, s24
	s_cbranch_execnz .LBB17_11
; %bb.12:                               ;   in Loop: Header=BB17_5 Depth=1
	s_or_b32 exec_lo, exec_lo, s24
.LBB17_13:                              ;   in Loop: Header=BB17_5 Depth=1
	s_delay_alu instid0(SALU_CYCLE_1)
	s_or_b32 exec_lo, exec_lo, s3
	s_mov_b32 s31, 0
.LBB17_14:                              ;   in Loop: Header=BB17_5 Depth=1
	s_delay_alu instid0(SALU_CYCLE_1)
	s_and_b32 vcc_lo, exec_lo, s31
	s_cbranch_vccz .LBB17_3
; %bb.15:                               ;   in Loop: Header=BB17_5 Depth=1
	s_and_not1_b32 vcc_lo, exec_lo, s18
	s_cbranch_vccnz .LBB17_17
; %bb.16:                               ;   in Loop: Header=BB17_5 Depth=1
	v_lshl_add_u64 v[22:23], v[10:11], 3, s[22:23]
	s_delay_alu instid0(VALU_DEP_1)
	v_lshl_add_u64 v[22:23], v[0:1], 3, v[22:23]
	flat_load_b64 v[22:23], v[22:23]
	s_wait_loadcnt_dscnt 0x0
	s_wait_xcnt 0x1
	v_mul_f64_e32 v[20:21], v[20:21], v[22:23]
.LBB17_17:                              ;   in Loop: Header=BB17_5 Depth=1
	s_wait_xcnt 0x0
	s_and_saveexec_b32 s3, s2
	s_cbranch_execz .LBB17_2
; %bb.18:                               ;   in Loop: Header=BB17_5 Depth=1
	v_lshl_add_u64 v[22:23], v[12:13], 3, s[22:23]
	v_mov_b32_e32 v5, v0
	s_mov_b32 s22, 0
.LBB17_19:                              ;   Parent Loop BB17_5 Depth=1
                                        ; =>  This Inner Loop Header: Depth=2
	flat_load_b64 v[24:25], v[22:23]
	flat_load_b64 v[26:27], v3, s[20:21]
	v_add_nc_u32_e32 v5, -1, v5
	s_wait_xcnt 0x1
	v_add_nc_u64_e32 v[22:23], 8, v[22:23]
	s_wait_xcnt 0x0
	s_add_nc_u64 s[20:21], s[20:21], s[12:13]
	v_cmp_eq_u32_e32 vcc_lo, 0, v5
	s_or_b32 s22, vcc_lo, s22
	s_wait_loadcnt_dscnt 0x0
	v_fmac_f64_e32 v[20:21], v[24:25], v[26:27]
	s_and_not1_b32 exec_lo, exec_lo, s22
	s_cbranch_execnz .LBB17_19
; %bb.20:                               ;   in Loop: Header=BB17_5 Depth=1
	s_or_b32 exec_lo, exec_lo, s22
	s_branch .LBB17_2
.LBB17_21:
	s_endpgm
	.section	.rodata,"a",@progbits
	.p2align	6, 0x0
	.amdhsa_kernel _ZL20rocblas_tpmvc_kernelILi512EPKPKdPKPdS4_EvbbiT0_llT1_lllT2_li
		.amdhsa_group_segment_fixed_size 0
		.amdhsa_private_segment_fixed_size 0
		.amdhsa_kernarg_size 344
		.amdhsa_user_sgpr_count 2
		.amdhsa_user_sgpr_dispatch_ptr 0
		.amdhsa_user_sgpr_queue_ptr 0
		.amdhsa_user_sgpr_kernarg_segment_ptr 1
		.amdhsa_user_sgpr_dispatch_id 0
		.amdhsa_user_sgpr_kernarg_preload_length 0
		.amdhsa_user_sgpr_kernarg_preload_offset 0
		.amdhsa_user_sgpr_private_segment_size 0
		.amdhsa_wavefront_size32 1
		.amdhsa_uses_dynamic_stack 0
		.amdhsa_enable_private_segment 0
		.amdhsa_system_sgpr_workgroup_id_x 1
		.amdhsa_system_sgpr_workgroup_id_y 0
		.amdhsa_system_sgpr_workgroup_id_z 1
		.amdhsa_system_sgpr_workgroup_info 0
		.amdhsa_system_vgpr_workitem_id 0
		.amdhsa_next_free_vgpr 32
		.amdhsa_next_free_sgpr 32
		.amdhsa_named_barrier_count 0
		.amdhsa_reserve_vcc 1
		.amdhsa_float_round_mode_32 0
		.amdhsa_float_round_mode_16_64 0
		.amdhsa_float_denorm_mode_32 3
		.amdhsa_float_denorm_mode_16_64 3
		.amdhsa_fp16_overflow 0
		.amdhsa_memory_ordered 1
		.amdhsa_forward_progress 1
		.amdhsa_inst_pref_size 8
		.amdhsa_round_robin_scheduling 0
		.amdhsa_exception_fp_ieee_invalid_op 0
		.amdhsa_exception_fp_denorm_src 0
		.amdhsa_exception_fp_ieee_div_zero 0
		.amdhsa_exception_fp_ieee_overflow 0
		.amdhsa_exception_fp_ieee_underflow 0
		.amdhsa_exception_fp_ieee_inexact 0
		.amdhsa_exception_int_div_zero 0
	.end_amdhsa_kernel
	.section	.text._ZL20rocblas_tpmvc_kernelILi512EPKPKdPKPdS4_EvbbiT0_llT1_lllT2_li,"axG",@progbits,_ZL20rocblas_tpmvc_kernelILi512EPKPKdPKPdS4_EvbbiT0_llT1_lllT2_li,comdat
.Lfunc_end17:
	.size	_ZL20rocblas_tpmvc_kernelILi512EPKPKdPKPdS4_EvbbiT0_llT1_lllT2_li, .Lfunc_end17-_ZL20rocblas_tpmvc_kernelILi512EPKPKdPKPdS4_EvbbiT0_llT1_lllT2_li
                                        ; -- End function
	.set _ZL20rocblas_tpmvc_kernelILi512EPKPKdPKPdS4_EvbbiT0_llT1_lllT2_li.num_vgpr, 32
	.set _ZL20rocblas_tpmvc_kernelILi512EPKPKdPKPdS4_EvbbiT0_llT1_lllT2_li.num_agpr, 0
	.set _ZL20rocblas_tpmvc_kernelILi512EPKPKdPKPdS4_EvbbiT0_llT1_lllT2_li.numbered_sgpr, 32
	.set _ZL20rocblas_tpmvc_kernelILi512EPKPKdPKPdS4_EvbbiT0_llT1_lllT2_li.num_named_barrier, 0
	.set _ZL20rocblas_tpmvc_kernelILi512EPKPKdPKPdS4_EvbbiT0_llT1_lllT2_li.private_seg_size, 0
	.set _ZL20rocblas_tpmvc_kernelILi512EPKPKdPKPdS4_EvbbiT0_llT1_lllT2_li.uses_vcc, 1
	.set _ZL20rocblas_tpmvc_kernelILi512EPKPKdPKPdS4_EvbbiT0_llT1_lllT2_li.uses_flat_scratch, 0
	.set _ZL20rocblas_tpmvc_kernelILi512EPKPKdPKPdS4_EvbbiT0_llT1_lllT2_li.has_dyn_sized_stack, 0
	.set _ZL20rocblas_tpmvc_kernelILi512EPKPKdPKPdS4_EvbbiT0_llT1_lllT2_li.has_recursion, 0
	.set _ZL20rocblas_tpmvc_kernelILi512EPKPKdPKPdS4_EvbbiT0_llT1_lllT2_li.has_indirect_call, 0
	.section	.AMDGPU.csdata,"",@progbits
; Kernel info:
; codeLenInByte = 916
; TotalNumSgprs: 34
; NumVgprs: 32
; ScratchSize: 0
; MemoryBound: 0
; FloatMode: 240
; IeeeMode: 1
; LDSByteSize: 0 bytes/workgroup (compile time only)
; SGPRBlocks: 0
; VGPRBlocks: 1
; NumSGPRsForWavesPerEU: 34
; NumVGPRsForWavesPerEU: 32
; NamedBarCnt: 0
; Occupancy: 16
; WaveLimiterHint : 1
; COMPUTE_PGM_RSRC2:SCRATCH_EN: 0
; COMPUTE_PGM_RSRC2:USER_SGPR: 2
; COMPUTE_PGM_RSRC2:TRAP_HANDLER: 0
; COMPUTE_PGM_RSRC2:TGID_X_EN: 1
; COMPUTE_PGM_RSRC2:TGID_Y_EN: 0
; COMPUTE_PGM_RSRC2:TGID_Z_EN: 1
; COMPUTE_PGM_RSRC2:TIDIG_COMP_CNT: 0
	.section	.text._ZL20rocblas_tpmvn_kernelILi512EPKPK19rocblas_complex_numIfEPKPS1_S6_EvbbiT0_llT1_lllT2_li,"axG",@progbits,_ZL20rocblas_tpmvn_kernelILi512EPKPK19rocblas_complex_numIfEPKPS1_S6_EvbbiT0_llT1_lllT2_li,comdat
	.globl	_ZL20rocblas_tpmvn_kernelILi512EPKPK19rocblas_complex_numIfEPKPS1_S6_EvbbiT0_llT1_lllT2_li ; -- Begin function _ZL20rocblas_tpmvn_kernelILi512EPKPK19rocblas_complex_numIfEPKPS1_S6_EvbbiT0_llT1_lllT2_li
	.p2align	8
	.type	_ZL20rocblas_tpmvn_kernelILi512EPKPK19rocblas_complex_numIfEPKPS1_S6_EvbbiT0_llT1_lllT2_li,@function
_ZL20rocblas_tpmvn_kernelILi512EPKPK19rocblas_complex_numIfEPKPS1_S6_EvbbiT0_llT1_lllT2_li: ; @_ZL20rocblas_tpmvn_kernelILi512EPKPK19rocblas_complex_numIfEPKPS1_S6_EvbbiT0_llT1_lllT2_li
; %bb.0:
	s_load_b32 s28, s[0:1], 0x50
	s_bfe_u32 s2, ttmp6, 0x40014
	s_lshr_b32 s3, ttmp7, 16
	s_add_co_i32 s2, s2, 1
	s_bfe_u32 s5, ttmp6, 0x40008
	s_mul_i32 s4, s3, s2
	s_getreg_b32 s2, hwreg(HW_REG_IB_STS2, 6, 4)
	s_add_co_i32 s5, s5, s4
	s_cmp_eq_u32 s2, 0
	s_mov_b32 s17, 0
	s_cselect_b32 s16, s3, s5
	s_wait_kmcnt 0x0
	s_cmp_ge_u32 s16, s28
	s_cbranch_scc1 .LBB18_21
; %bb.1:
	s_clause 0x5
	s_load_b32 s3, s[0:1], 0x0
	s_load_b64 s[18:19], s[0:1], 0x0
	s_load_b32 s4, s[0:1], 0x64
	s_load_b64 s[22:23], s[0:1], 0x30
	s_load_b128 s[8:11], s[0:1], 0x20
	s_load_b128 s[12:15], s[0:1], 0x8
	s_wait_kmcnt 0x0
	s_bitcmp1_b32 s3, 0
	s_mov_b32 s20, s19
	s_cselect_b32 s3, -1, 0
	s_delay_alu instid0(SALU_CYCLE_1)
	s_xor_b32 s29, s3, -1
	s_bitcmp1_b32 s18, 8
	s_cselect_b32 s3, -1, 0
	s_bfe_u32 s5, ttmp6, 0x4000c
	s_and_b32 s6, ttmp6, 15
	s_add_co_i32 s5, s5, 1
	s_and_b32 s4, s4, 0xffff
	s_mul_i32 s5, ttmp9, s5
	s_xor_b32 s18, s3, -1
	s_add_co_i32 s6, s6, s5
	s_cmp_eq_u32 s2, 0
	v_cndmask_b32_e64 v28, 0, 1, s18
	s_cselect_b32 s2, ttmp9, s6
	s_ashr_i32 s21, s19, 31
	v_mad_u32 v0, s2, s4, v0
	s_load_b128 s[4:7], s[0:1], 0x40
	s_lshl_b64 s[10:11], s[10:11], 3
	s_lshl_b64 s[14:15], s[14:15], 3
	s_delay_alu instid0(VALU_DEP_1)
	v_dual_ashrrev_i32 v1, 31, v0 :: v_dual_add_nc_u32 v2, 1, v0
	s_wait_xcnt 0x0
	v_cmp_gt_i32_e64 s0, s19, v0
	v_cmp_lt_i32_e64 s1, 0, v0
	v_add_nc_u32_e32 v6, 2, v0
	v_add_nc_u64_e32 v[4:5], -1, v[0:1]
	v_ashrrev_i32_e32 v3, 31, v2
	v_mul_u64_e32 v[12:13], s[20:21], v[0:1]
	v_cmp_gt_i32_e64 s2, s19, v2
	v_ashrrev_i32_e32 v7, 31, v6
	s_delay_alu instid0(VALU_DEP_4) | instskip(SKIP_3) | instid1(VALU_DEP_4)
	v_mul_u64_e32 v[10:11], v[2:3], v[0:1]
	v_mul_u64_e32 v[8:9], v[4:5], v[0:1]
	;; [unrolled: 1-line block ×4, first 2 shown]
	v_lshrrev_b64 v[10:11], 1, v[10:11]
	s_delay_alu instid0(VALU_DEP_4) | instskip(SKIP_4) | instid1(VALU_DEP_3)
	v_lshrrev_b64 v[16:17], 1, v[8:9]
	s_wait_kmcnt 0x0
	v_lshl_add_u64 v[8:9], v[0:1], 3, s[4:5]
	v_lshl_add_u64 v[14:15], v[14:15], 3, s[10:11]
	s_lshl_b64 s[4:5], s[22:23], 3
	v_sub_nc_u64_e32 v[12:13], v[12:13], v[16:17]
	v_mov_b32_e32 v17, 0
	s_branch .LBB18_5
.LBB18_2:                               ;   in Loop: Header=BB18_5 Depth=1
	s_or_b32 exec_lo, exec_lo, s3
	s_wait_loadcnt_dscnt 0x0
	v_mov_b64_e32 v[24:25], v[18:19]
.LBB18_3:                               ;   in Loop: Header=BB18_5 Depth=1
	s_mul_u64 s[22:23], s[6:7], s[16:17]
	s_wait_loadcnt_dscnt 0x0
	s_wait_xcnt 0x0
	v_lshl_add_u64 v[18:19], s[22:23], 3, v[8:9]
	global_store_b64 v[18:19], v[24:25], off
.LBB18_4:                               ;   in Loop: Header=BB18_5 Depth=1
	s_wait_xcnt 0x0
	s_or_b32 exec_lo, exec_lo, s30
	s_add_co_i32 s16, s16, 0x10000
	s_delay_alu instid0(SALU_CYCLE_1)
	s_cmp_lt_u32 s16, s28
	s_cbranch_scc0 .LBB18_21
.LBB18_5:                               ; =>This Loop Header: Depth=1
                                        ;     Child Loop BB18_11 Depth 2
                                        ;     Child Loop BB18_19 Depth 2
	s_and_saveexec_b32 s30, s0
	s_cbranch_execz .LBB18_4
; %bb.6:                                ;   in Loop: Header=BB18_5 Depth=1
	v_mov_b32_e32 v16, s16
	v_cmp_ne_u32_e64 s3, 1, v28
	s_and_b32 vcc_lo, exec_lo, s29
	s_mov_b32 s22, -1
                                        ; implicit-def: $vgpr24_vgpr25
	s_clause 0x1
	global_load_b64 v[20:21], v16, s[8:9] scale_offset
	global_load_b64 v[22:23], v16, s[12:13] scale_offset
	s_wait_loadcnt 0x1
	v_add_nc_u64_e32 v[26:27], s[10:11], v[20:21]
	s_wait_loadcnt 0x0
	v_add_nc_u64_e32 v[22:23], s[14:15], v[22:23]
	s_delay_alu instid0(VALU_DEP_2)
	v_lshl_add_u64 v[18:19], v[4:5], 3, v[26:27]
	flat_load_b64 v[18:19], v[18:19]
	s_cbranch_vccz .LBB18_14
; %bb.7:                                ;   in Loop: Header=BB18_5 Depth=1
	s_wait_loadcnt_dscnt 0x0
	v_mov_b64_e32 v[24:25], v[18:19]
	s_and_b32 vcc_lo, exec_lo, s3
	s_cbranch_vccnz .LBB18_9
; %bb.8:                                ;   in Loop: Header=BB18_5 Depth=1
	v_lshl_add_u64 v[24:25], v[12:13], 3, v[22:23]
	flat_load_b64 v[24:25], v[24:25]
	s_wait_loadcnt_dscnt 0x0
	v_pk_mul_f32 v[30:31], v[18:19], v[24:25] op_sel:[1,1] op_sel_hi:[0,1]
	s_delay_alu instid0(VALU_DEP_1) | instskip(SKIP_2) | instid1(VALU_DEP_2)
	v_pk_fma_f32 v[32:33], v[18:19], v[24:25], v[30:31] op_sel_hi:[1,0,1]
	s_wait_xcnt 0x0
	v_pk_fma_f32 v[24:25], v[18:19], v[24:25], v[30:31] neg_lo:[0,0,1] neg_hi:[0,0,1]
	v_mov_b32_e32 v25, v33
.LBB18_9:                               ;   in Loop: Header=BB18_5 Depth=1
	s_wait_xcnt 0x0
	s_and_saveexec_b32 s3, s1
	s_cbranch_execz .LBB18_13
; %bb.10:                               ;   in Loop: Header=BB18_5 Depth=1
	v_mov_b32_e32 v16, v0
	s_mov_b64 s[22:23], 0
	s_mov_b32 s31, 0
	s_mov_b64 s[26:27], 0
	s_mov_b64 s[24:25], 0
.LBB18_11:                              ;   Parent Loop BB18_5 Depth=1
                                        ; =>  This Inner Loop Header: Depth=2
	s_delay_alu instid0(SALU_CYCLE_1) | instskip(SKIP_3) | instid1(VALU_DEP_1)
	v_add_nc_u64_e32 v[30:31], s[24:25], v[16:17]
	s_lshr_b64 s[34:35], s[22:23], 1
	s_add_nc_u64 s[24:25], s[24:25], s[20:21]
	s_add_nc_u64 s[22:23], s[22:23], s[26:27]
	v_sub_nc_u64_e64 v[30:31], v[30:31], s[34:35]
	s_add_nc_u64 s[34:35], s[26:27], 2
	s_delay_alu instid0(SALU_CYCLE_1) | instskip(NEXT) | instid1(VALU_DEP_1)
	s_mov_b64 s[26:27], s[34:35]
	v_lshl_add_u64 v[30:31], v[30:31], 3, v[22:23]
	flat_load_b64 v[32:33], v[26:27]
	flat_load_b64 v[34:35], v[30:31]
	s_wait_xcnt 0x1
	v_add_nc_u64_e32 v[26:27], s[4:5], v[26:27]
	s_wait_loadcnt_dscnt 0x0
	s_wait_xcnt 0x0
	v_pk_mul_f32 v[30:31], v[32:33], v[34:35] op_sel:[1,1] op_sel_hi:[0,1]
	s_delay_alu instid0(VALU_DEP_1) | instskip(SKIP_2) | instid1(VALU_DEP_3)
	v_pk_fma_f32 v[36:37], v[32:33], v[34:35], v[30:31] op_sel_hi:[1,0,1]
	v_add_nc_u32_e32 v16, -1, v16
	v_pk_fma_f32 v[30:31], v[32:33], v[34:35], v[30:31] neg_lo:[0,0,1] neg_hi:[0,0,1]
	v_mov_b32_e32 v31, v37
	s_delay_alu instid0(VALU_DEP_3) | instskip(NEXT) | instid1(VALU_DEP_2)
	v_cmp_eq_u32_e32 vcc_lo, 0, v16
	v_pk_add_f32 v[24:25], v[24:25], v[30:31]
	s_or_b32 s31, vcc_lo, s31
	s_delay_alu instid0(SALU_CYCLE_1)
	s_and_not1_b32 exec_lo, exec_lo, s31
	s_cbranch_execnz .LBB18_11
; %bb.12:                               ;   in Loop: Header=BB18_5 Depth=1
	s_or_b32 exec_lo, exec_lo, s31
.LBB18_13:                              ;   in Loop: Header=BB18_5 Depth=1
	s_delay_alu instid0(SALU_CYCLE_1)
	s_or_b32 exec_lo, exec_lo, s3
	s_mov_b32 s22, 0
.LBB18_14:                              ;   in Loop: Header=BB18_5 Depth=1
	s_delay_alu instid0(SALU_CYCLE_1)
	s_and_b32 vcc_lo, exec_lo, s22
	s_cbranch_vccz .LBB18_3
; %bb.15:                               ;   in Loop: Header=BB18_5 Depth=1
	s_and_not1_b32 vcc_lo, exec_lo, s18
	s_cbranch_vccnz .LBB18_17
; %bb.16:                               ;   in Loop: Header=BB18_5 Depth=1
	v_lshl_add_u64 v[24:25], v[10:11], 3, v[22:23]
	s_delay_alu instid0(VALU_DEP_1) | instskip(SKIP_3) | instid1(VALU_DEP_1)
	v_lshl_add_u64 v[24:25], v[0:1], 3, v[24:25]
	flat_load_b64 v[24:25], v[24:25]
	s_wait_loadcnt_dscnt 0x0
	v_pk_mul_f32 v[26:27], v[18:19], v[24:25] op_sel:[1,1] op_sel_hi:[0,1]
	v_pk_fma_f32 v[30:31], v[18:19], v[24:25], v[26:27] op_sel_hi:[1,0,1]
	s_wait_xcnt 0x1
	v_pk_fma_f32 v[18:19], v[18:19], v[24:25], v[26:27] neg_lo:[0,0,1] neg_hi:[0,0,1]
	s_delay_alu instid0(VALU_DEP_2)
	v_mov_b32_e32 v19, v31
.LBB18_17:                              ;   in Loop: Header=BB18_5 Depth=1
	s_wait_xcnt 0x0
	s_and_saveexec_b32 s3, s2
	s_cbranch_execz .LBB18_2
; %bb.18:                               ;   in Loop: Header=BB18_5 Depth=1
	v_add_nc_u64_e32 v[20:21], v[20:21], v[14:15]
	v_mov_b64_e32 v[26:27], v[2:3]
	v_mov_b64_e32 v[24:25], v[6:7]
	v_lshl_add_u64 v[22:23], v[0:1], 3, v[22:23]
	s_mov_b32 s22, 0
.LBB18_19:                              ;   Parent Loop BB18_5 Depth=1
                                        ; =>  This Inner Loop Header: Depth=2
	s_delay_alu instid0(VALU_DEP_2) | instskip(SKIP_2) | instid1(VALU_DEP_2)
	v_mul_u64_e32 v[30:31], v[24:25], v[26:27]
	v_add_nc_u64_e32 v[26:27], 1, v[26:27]
	v_add_nc_u64_e32 v[24:25], 1, v[24:25]
	v_cmp_le_i32_e32 vcc_lo, s19, v26
	s_or_b32 s22, vcc_lo, s22
	s_delay_alu instid0(VALU_DEP_4) | instskip(NEXT) | instid1(VALU_DEP_1)
	v_lshlrev_b64_e32 v[30:31], 2, v[30:31]
	v_and_b32_e32 v30, -8, v30
	s_delay_alu instid0(VALU_DEP_1)
	v_add_nc_u64_e32 v[30:31], v[22:23], v[30:31]
	flat_load_b64 v[32:33], v[20:21]
	flat_load_b64 v[34:35], v[30:31]
	s_wait_xcnt 0x1
	v_add_nc_u64_e32 v[20:21], s[4:5], v[20:21]
	s_wait_loadcnt_dscnt 0x0
	s_wait_xcnt 0x0
	v_pk_mul_f32 v[30:31], v[32:33], v[34:35] op_sel:[1,1] op_sel_hi:[0,1]
	s_delay_alu instid0(VALU_DEP_1) | instskip(SKIP_1) | instid1(VALU_DEP_2)
	v_pk_fma_f32 v[36:37], v[32:33], v[34:35], v[30:31] op_sel_hi:[1,0,1]
	v_pk_fma_f32 v[30:31], v[32:33], v[34:35], v[30:31] neg_lo:[0,0,1] neg_hi:[0,0,1]
	v_mov_b32_e32 v31, v37
	s_delay_alu instid0(VALU_DEP_1)
	v_pk_add_f32 v[18:19], v[18:19], v[30:31]
	s_and_not1_b32 exec_lo, exec_lo, s22
	s_cbranch_execnz .LBB18_19
; %bb.20:                               ;   in Loop: Header=BB18_5 Depth=1
	s_or_b32 exec_lo, exec_lo, s22
	s_branch .LBB18_2
.LBB18_21:
	s_endpgm
	.section	.rodata,"a",@progbits
	.p2align	6, 0x0
	.amdhsa_kernel _ZL20rocblas_tpmvn_kernelILi512EPKPK19rocblas_complex_numIfEPKPS1_S6_EvbbiT0_llT1_lllT2_li
		.amdhsa_group_segment_fixed_size 0
		.amdhsa_private_segment_fixed_size 0
		.amdhsa_kernarg_size 344
		.amdhsa_user_sgpr_count 2
		.amdhsa_user_sgpr_dispatch_ptr 0
		.amdhsa_user_sgpr_queue_ptr 0
		.amdhsa_user_sgpr_kernarg_segment_ptr 1
		.amdhsa_user_sgpr_dispatch_id 0
		.amdhsa_user_sgpr_kernarg_preload_length 0
		.amdhsa_user_sgpr_kernarg_preload_offset 0
		.amdhsa_user_sgpr_private_segment_size 0
		.amdhsa_wavefront_size32 1
		.amdhsa_uses_dynamic_stack 0
		.amdhsa_enable_private_segment 0
		.amdhsa_system_sgpr_workgroup_id_x 1
		.amdhsa_system_sgpr_workgroup_id_y 0
		.amdhsa_system_sgpr_workgroup_id_z 1
		.amdhsa_system_sgpr_workgroup_info 0
		.amdhsa_system_vgpr_workitem_id 0
		.amdhsa_next_free_vgpr 38
		.amdhsa_next_free_sgpr 36
		.amdhsa_named_barrier_count 0
		.amdhsa_reserve_vcc 1
		.amdhsa_float_round_mode_32 0
		.amdhsa_float_round_mode_16_64 0
		.amdhsa_float_denorm_mode_32 3
		.amdhsa_float_denorm_mode_16_64 3
		.amdhsa_fp16_overflow 0
		.amdhsa_memory_ordered 1
		.amdhsa_forward_progress 1
		.amdhsa_inst_pref_size 9
		.amdhsa_round_robin_scheduling 0
		.amdhsa_exception_fp_ieee_invalid_op 0
		.amdhsa_exception_fp_denorm_src 0
		.amdhsa_exception_fp_ieee_div_zero 0
		.amdhsa_exception_fp_ieee_overflow 0
		.amdhsa_exception_fp_ieee_underflow 0
		.amdhsa_exception_fp_ieee_inexact 0
		.amdhsa_exception_int_div_zero 0
	.end_amdhsa_kernel
	.section	.text._ZL20rocblas_tpmvn_kernelILi512EPKPK19rocblas_complex_numIfEPKPS1_S6_EvbbiT0_llT1_lllT2_li,"axG",@progbits,_ZL20rocblas_tpmvn_kernelILi512EPKPK19rocblas_complex_numIfEPKPS1_S6_EvbbiT0_llT1_lllT2_li,comdat
.Lfunc_end18:
	.size	_ZL20rocblas_tpmvn_kernelILi512EPKPK19rocblas_complex_numIfEPKPS1_S6_EvbbiT0_llT1_lllT2_li, .Lfunc_end18-_ZL20rocblas_tpmvn_kernelILi512EPKPK19rocblas_complex_numIfEPKPS1_S6_EvbbiT0_llT1_lllT2_li
                                        ; -- End function
	.set _ZL20rocblas_tpmvn_kernelILi512EPKPK19rocblas_complex_numIfEPKPS1_S6_EvbbiT0_llT1_lllT2_li.num_vgpr, 38
	.set _ZL20rocblas_tpmvn_kernelILi512EPKPK19rocblas_complex_numIfEPKPS1_S6_EvbbiT0_llT1_lllT2_li.num_agpr, 0
	.set _ZL20rocblas_tpmvn_kernelILi512EPKPK19rocblas_complex_numIfEPKPS1_S6_EvbbiT0_llT1_lllT2_li.numbered_sgpr, 36
	.set _ZL20rocblas_tpmvn_kernelILi512EPKPK19rocblas_complex_numIfEPKPS1_S6_EvbbiT0_llT1_lllT2_li.num_named_barrier, 0
	.set _ZL20rocblas_tpmvn_kernelILi512EPKPK19rocblas_complex_numIfEPKPS1_S6_EvbbiT0_llT1_lllT2_li.private_seg_size, 0
	.set _ZL20rocblas_tpmvn_kernelILi512EPKPK19rocblas_complex_numIfEPKPS1_S6_EvbbiT0_llT1_lllT2_li.uses_vcc, 1
	.set _ZL20rocblas_tpmvn_kernelILi512EPKPK19rocblas_complex_numIfEPKPS1_S6_EvbbiT0_llT1_lllT2_li.uses_flat_scratch, 0
	.set _ZL20rocblas_tpmvn_kernelILi512EPKPK19rocblas_complex_numIfEPKPS1_S6_EvbbiT0_llT1_lllT2_li.has_dyn_sized_stack, 0
	.set _ZL20rocblas_tpmvn_kernelILi512EPKPK19rocblas_complex_numIfEPKPS1_S6_EvbbiT0_llT1_lllT2_li.has_recursion, 0
	.set _ZL20rocblas_tpmvn_kernelILi512EPKPK19rocblas_complex_numIfEPKPS1_S6_EvbbiT0_llT1_lllT2_li.has_indirect_call, 0
	.section	.AMDGPU.csdata,"",@progbits
; Kernel info:
; codeLenInByte = 1100
; TotalNumSgprs: 38
; NumVgprs: 38
; ScratchSize: 0
; MemoryBound: 0
; FloatMode: 240
; IeeeMode: 1
; LDSByteSize: 0 bytes/workgroup (compile time only)
; SGPRBlocks: 0
; VGPRBlocks: 2
; NumSGPRsForWavesPerEU: 38
; NumVGPRsForWavesPerEU: 38
; NamedBarCnt: 0
; Occupancy: 16
; WaveLimiterHint : 1
; COMPUTE_PGM_RSRC2:SCRATCH_EN: 0
; COMPUTE_PGM_RSRC2:USER_SGPR: 2
; COMPUTE_PGM_RSRC2:TRAP_HANDLER: 0
; COMPUTE_PGM_RSRC2:TGID_X_EN: 1
; COMPUTE_PGM_RSRC2:TGID_Y_EN: 0
; COMPUTE_PGM_RSRC2:TGID_Z_EN: 1
; COMPUTE_PGM_RSRC2:TIDIG_COMP_CNT: 0
	.section	.text._ZL20rocblas_tpmvt_kernelILi512EPKPK19rocblas_complex_numIfEPKPS1_S6_EvbbiT0_llT1_lllT2_li,"axG",@progbits,_ZL20rocblas_tpmvt_kernelILi512EPKPK19rocblas_complex_numIfEPKPS1_S6_EvbbiT0_llT1_lllT2_li,comdat
	.globl	_ZL20rocblas_tpmvt_kernelILi512EPKPK19rocblas_complex_numIfEPKPS1_S6_EvbbiT0_llT1_lllT2_li ; -- Begin function _ZL20rocblas_tpmvt_kernelILi512EPKPK19rocblas_complex_numIfEPKPS1_S6_EvbbiT0_llT1_lllT2_li
	.p2align	8
	.type	_ZL20rocblas_tpmvt_kernelILi512EPKPK19rocblas_complex_numIfEPKPS1_S6_EvbbiT0_llT1_lllT2_li,@function
_ZL20rocblas_tpmvt_kernelILi512EPKPK19rocblas_complex_numIfEPKPS1_S6_EvbbiT0_llT1_lllT2_li: ; @_ZL20rocblas_tpmvt_kernelILi512EPKPK19rocblas_complex_numIfEPKPS1_S6_EvbbiT0_llT1_lllT2_li
; %bb.0:
	s_load_b32 s20, s[0:1], 0x50
	s_bfe_u32 s2, ttmp6, 0x40014
	s_lshr_b32 s3, ttmp7, 16
	s_add_co_i32 s2, s2, 1
	s_bfe_u32 s5, ttmp6, 0x40008
	s_mul_i32 s4, s3, s2
	s_getreg_b32 s2, hwreg(HW_REG_IB_STS2, 6, 4)
	s_add_co_i32 s5, s5, s4
	s_cmp_eq_u32 s2, 0
	s_mov_b32 s17, 0
	s_cselect_b32 s16, s3, s5
	s_wait_kmcnt 0x0
	s_cmp_ge_u32 s16, s20
	s_cbranch_scc1 .LBB19_21
; %bb.1:
	s_clause 0x4
	s_load_b32 s3, s[0:1], 0x0
	s_load_b64 s[18:19], s[0:1], 0x0
	s_load_b32 s4, s[0:1], 0x64
	s_load_b128 s[8:11], s[0:1], 0x20
	s_load_b64 s[22:23], s[0:1], 0x30
	v_mov_b32_e32 v7, 0
	s_wait_kmcnt 0x0
	s_bitcmp1_b32 s3, 0
	s_cselect_b32 s3, -1, 0
	s_delay_alu instid0(SALU_CYCLE_1)
	s_xor_b32 s21, s3, -1
	s_bitcmp1_b32 s18, 8
	s_cselect_b32 s3, -1, 0
	s_bfe_u32 s5, ttmp6, 0x4000c
	s_and_b32 s6, ttmp6, 15
	s_add_co_i32 s5, s5, 1
	s_and_b32 s4, s4, 0xffff
	s_mul_i32 s5, ttmp9, s5
	s_xor_b32 s18, s3, -1
	s_add_co_i32 s6, s6, s5
	s_cmp_eq_u32 s2, 0
	s_cselect_b32 s2, ttmp9, s6
	s_ashr_i32 s3, s19, 31
	v_mad_u32 v0, s2, s4, v0
	s_load_b128 s[4:7], s[0:1], 0x8
	s_mov_b32 s2, s19
	s_lshl_b64 s[10:11], s[10:11], 3
	s_lshl_b64 s[12:13], s[2:3], 3
	s_delay_alu instid0(SALU_CYCLE_1) | instskip(SKIP_1) | instid1(VALU_DEP_1)
	s_add_nc_u64 s[24:25], s[12:13], -8
	s_load_b128 s[12:15], s[0:1], 0x40
	v_dual_ashrrev_i32 v1, 31, v0 :: v_dual_add_nc_u32 v2, 1, v0
	s_wait_xcnt 0x0
	v_cmp_gt_i32_e64 s0, s19, v0
	s_delay_alu instid0(VALU_DEP_2) | instskip(NEXT) | instid1(VALU_DEP_3)
	v_add_nc_u64_e32 v[4:5], -1, v[0:1]
	v_dual_mov_b32 v6, v2 :: v_dual_ashrrev_i32 v3, 31, v2
	v_mul_u64_e32 v[10:11], s[2:3], v[0:1]
	v_cmp_gt_i32_e64 s1, s19, v2
	s_wait_kmcnt 0x0
	s_lshl_b64 s[6:7], s[6:7], 3
	v_mul_u64_e32 v[14:15], v[2:3], v[0:1]
	v_mul_u64_e32 v[8:9], v[4:5], v[0:1]
	v_mad_nc_u64_u32 v[12:13], s24, v0, s[6:7]
	v_mul_u64_e32 v[16:17], v[6:7], v[0:1]
	v_mul_u64_e32 v[18:19], s[22:23], v[2:3]
	;; [unrolled: 1-line block ×3, first 2 shown]
	v_cmp_lt_i32_e64 s2, 0, v0
	v_mad_u32 v6, s25, v0, v13
	s_delay_alu instid0(VALU_DEP_1) | instskip(SKIP_1) | instid1(VALU_DEP_1)
	v_mad_u32 v13, s24, v1, v6
	v_lshrrev_b64 v[8:9], 1, v[8:9]
	v_lshlrev_b64_e32 v[20:21], 3, v[8:9]
	v_sub_nc_u64_e32 v[6:7], v[10:11], v[8:9]
	v_lshrrev_b64 v[8:9], 1, v[14:15]
	v_lshl_add_u64 v[14:15], v[2:3], 3, v[12:13]
	v_lshrrev_b64 v[10:11], 1, v[16:17]
	v_lshl_add_u64 v[12:13], v[0:1], 3, s[12:13]
	v_lshl_add_u64 v[16:17], v[18:19], 3, s[10:11]
	v_cndmask_b32_e64 v3, 0, 1, s18
	v_sub_nc_u64_e32 v[14:15], v[14:15], v[20:21]
	s_lshl_b64 s[12:13], s[22:23], 3
	s_branch .LBB19_5
.LBB19_2:                               ;   in Loop: Header=BB19_5 Depth=1
	s_or_b32 exec_lo, exec_lo, s3
	s_wait_loadcnt_dscnt 0x0
	v_mov_b64_e32 v[24:25], v[18:19]
.LBB19_3:                               ;   in Loop: Header=BB19_5 Depth=1
	s_mul_u64 s[24:25], s[14:15], s[16:17]
	s_wait_loadcnt_dscnt 0x0
	s_wait_xcnt 0x0
	v_lshl_add_u64 v[18:19], s[24:25], 3, v[12:13]
	global_store_b64 v[18:19], v[24:25], off
.LBB19_4:                               ;   in Loop: Header=BB19_5 Depth=1
	s_wait_xcnt 0x0
	s_or_b32 exec_lo, exec_lo, s22
	s_add_co_i32 s16, s16, 0x10000
	s_delay_alu instid0(SALU_CYCLE_1)
	s_cmp_lt_u32 s16, s20
	s_cbranch_scc0 .LBB19_21
.LBB19_5:                               ; =>This Loop Header: Depth=1
                                        ;     Child Loop BB19_11 Depth 2
                                        ;     Child Loop BB19_19 Depth 2
	s_and_saveexec_b32 s22, s0
	s_cbranch_execz .LBB19_4
; %bb.6:                                ;   in Loop: Header=BB19_5 Depth=1
	v_mov_b32_e32 v18, s16
	v_cmp_ne_u32_e64 s3, 1, v3
	s_and_b32 vcc_lo, exec_lo, s21
	s_mov_b32 s23, -1
                                        ; implicit-def: $vgpr24_vgpr25
	s_clause 0x1
	global_load_b64 v[26:27], v18, s[8:9] scale_offset
	global_load_b64 v[28:29], v18, s[4:5] scale_offset
	s_wait_loadcnt 0x1
	v_add_nc_u64_e32 v[20:21], s[10:11], v[26:27]
	s_wait_loadcnt 0x0
	v_add_nc_u64_e32 v[22:23], s[6:7], v[28:29]
	s_wait_xcnt 0x0
	s_delay_alu instid0(VALU_DEP_2)
	v_lshl_add_u64 v[18:19], v[4:5], 3, v[20:21]
	flat_load_b64 v[18:19], v[18:19]
	s_cbranch_vccz .LBB19_14
; %bb.7:                                ;   in Loop: Header=BB19_5 Depth=1
	s_wait_loadcnt_dscnt 0x0
	v_mov_b64_e32 v[24:25], v[18:19]
	s_and_b32 vcc_lo, exec_lo, s3
	s_cbranch_vccnz .LBB19_9
; %bb.8:                                ;   in Loop: Header=BB19_5 Depth=1
	v_lshl_add_u64 v[24:25], v[6:7], 3, v[22:23]
	flat_load_b64 v[24:25], v[24:25]
	s_wait_loadcnt_dscnt 0x0
	v_pk_mul_f32 v[30:31], v[18:19], v[24:25] op_sel:[1,1] op_sel_hi:[0,1]
	s_delay_alu instid0(VALU_DEP_1) | instskip(SKIP_2) | instid1(VALU_DEP_2)
	v_pk_fma_f32 v[32:33], v[18:19], v[24:25], v[30:31] op_sel_hi:[1,0,1]
	s_wait_xcnt 0x0
	v_pk_fma_f32 v[24:25], v[18:19], v[24:25], v[30:31] neg_lo:[0,0,1] neg_hi:[0,0,1]
	v_mov_b32_e32 v25, v33
.LBB19_9:                               ;   in Loop: Header=BB19_5 Depth=1
	s_wait_xcnt 0x0
	s_and_saveexec_b32 s3, s1
	s_cbranch_execz .LBB19_13
; %bb.10:                               ;   in Loop: Header=BB19_5 Depth=1
	v_add_nc_u64_e32 v[26:27], v[26:27], v[16:17]
	v_add_nc_u64_e32 v[28:29], v[28:29], v[14:15]
	v_mov_b32_e32 v30, v2
	s_mov_b32 s23, 0
.LBB19_11:                              ;   Parent Loop BB19_5 Depth=1
                                        ; =>  This Inner Loop Header: Depth=2
	flat_load_b64 v[32:33], v[28:29]
	flat_load_b64 v[34:35], v[26:27]
	s_wait_xcnt 0x0
	v_add_nc_u64_e32 v[26:27], s[12:13], v[26:27]
	v_add_nc_u64_e32 v[28:29], 8, v[28:29]
	s_wait_loadcnt_dscnt 0x0
	v_pk_mul_f32 v[36:37], v[34:35], v[32:33] op_sel:[1,1] op_sel_hi:[0,1]
	s_delay_alu instid0(VALU_DEP_1) | instskip(SKIP_2) | instid1(VALU_DEP_3)
	v_pk_fma_f32 v[38:39], v[34:35], v[32:33], v[36:37] op_sel_hi:[1,0,1]
	v_add_nc_u32_e32 v30, 1, v30
	v_pk_fma_f32 v[32:33], v[34:35], v[32:33], v[36:37] neg_lo:[0,0,1] neg_hi:[0,0,1]
	v_mov_b32_e32 v33, v39
	s_delay_alu instid0(VALU_DEP_3) | instskip(NEXT) | instid1(VALU_DEP_2)
	v_cmp_le_i32_e32 vcc_lo, s19, v30
	v_pk_add_f32 v[24:25], v[24:25], v[32:33]
	s_or_b32 s23, vcc_lo, s23
	s_delay_alu instid0(SALU_CYCLE_1)
	s_and_not1_b32 exec_lo, exec_lo, s23
	s_cbranch_execnz .LBB19_11
; %bb.12:                               ;   in Loop: Header=BB19_5 Depth=1
	s_or_b32 exec_lo, exec_lo, s23
.LBB19_13:                              ;   in Loop: Header=BB19_5 Depth=1
	s_delay_alu instid0(SALU_CYCLE_1)
	s_or_b32 exec_lo, exec_lo, s3
	s_mov_b32 s23, 0
.LBB19_14:                              ;   in Loop: Header=BB19_5 Depth=1
	s_delay_alu instid0(SALU_CYCLE_1)
	s_and_b32 vcc_lo, exec_lo, s23
	s_cbranch_vccz .LBB19_3
; %bb.15:                               ;   in Loop: Header=BB19_5 Depth=1
	s_and_not1_b32 vcc_lo, exec_lo, s18
	s_cbranch_vccnz .LBB19_17
; %bb.16:                               ;   in Loop: Header=BB19_5 Depth=1
	v_lshl_add_u64 v[24:25], v[8:9], 3, v[22:23]
	s_delay_alu instid0(VALU_DEP_1) | instskip(SKIP_3) | instid1(VALU_DEP_1)
	v_lshl_add_u64 v[24:25], v[0:1], 3, v[24:25]
	flat_load_b64 v[24:25], v[24:25]
	s_wait_loadcnt_dscnt 0x0
	v_pk_mul_f32 v[26:27], v[18:19], v[24:25] op_sel:[1,1] op_sel_hi:[0,1]
	v_pk_fma_f32 v[28:29], v[18:19], v[24:25], v[26:27] op_sel_hi:[1,0,1]
	s_wait_xcnt 0x1
	v_pk_fma_f32 v[18:19], v[18:19], v[24:25], v[26:27] neg_lo:[0,0,1] neg_hi:[0,0,1]
	s_delay_alu instid0(VALU_DEP_2)
	v_mov_b32_e32 v19, v29
.LBB19_17:                              ;   in Loop: Header=BB19_5 Depth=1
	s_wait_xcnt 0x0
	s_and_saveexec_b32 s3, s2
	s_cbranch_execz .LBB19_2
; %bb.18:                               ;   in Loop: Header=BB19_5 Depth=1
	v_lshl_add_u64 v[22:23], v[10:11], 3, v[22:23]
	v_mov_b32_e32 v24, v0
	s_mov_b32 s23, 0
.LBB19_19:                              ;   Parent Loop BB19_5 Depth=1
                                        ; =>  This Inner Loop Header: Depth=2
	flat_load_b64 v[26:27], v[22:23]
	flat_load_b64 v[28:29], v[20:21]
	s_wait_xcnt 0x0
	v_add_nc_u64_e32 v[20:21], s[12:13], v[20:21]
	v_add_nc_u64_e32 v[22:23], 8, v[22:23]
	s_wait_loadcnt_dscnt 0x0
	v_pk_mul_f32 v[30:31], v[28:29], v[26:27] op_sel:[1,1] op_sel_hi:[0,1]
	s_delay_alu instid0(VALU_DEP_1) | instskip(SKIP_2) | instid1(VALU_DEP_3)
	v_pk_fma_f32 v[32:33], v[28:29], v[26:27], v[30:31] op_sel_hi:[1,0,1]
	v_add_nc_u32_e32 v24, -1, v24
	v_pk_fma_f32 v[26:27], v[28:29], v[26:27], v[30:31] neg_lo:[0,0,1] neg_hi:[0,0,1]
	v_mov_b32_e32 v27, v33
	s_delay_alu instid0(VALU_DEP_3) | instskip(NEXT) | instid1(VALU_DEP_2)
	v_cmp_eq_u32_e32 vcc_lo, 0, v24
	v_pk_add_f32 v[18:19], v[18:19], v[26:27]
	s_or_b32 s23, vcc_lo, s23
	s_delay_alu instid0(SALU_CYCLE_1)
	s_and_not1_b32 exec_lo, exec_lo, s23
	s_cbranch_execnz .LBB19_19
; %bb.20:                               ;   in Loop: Header=BB19_5 Depth=1
	s_or_b32 exec_lo, exec_lo, s23
	s_branch .LBB19_2
.LBB19_21:
	s_endpgm
	.section	.rodata,"a",@progbits
	.p2align	6, 0x0
	.amdhsa_kernel _ZL20rocblas_tpmvt_kernelILi512EPKPK19rocblas_complex_numIfEPKPS1_S6_EvbbiT0_llT1_lllT2_li
		.amdhsa_group_segment_fixed_size 0
		.amdhsa_private_segment_fixed_size 0
		.amdhsa_kernarg_size 344
		.amdhsa_user_sgpr_count 2
		.amdhsa_user_sgpr_dispatch_ptr 0
		.amdhsa_user_sgpr_queue_ptr 0
		.amdhsa_user_sgpr_kernarg_segment_ptr 1
		.amdhsa_user_sgpr_dispatch_id 0
		.amdhsa_user_sgpr_kernarg_preload_length 0
		.amdhsa_user_sgpr_kernarg_preload_offset 0
		.amdhsa_user_sgpr_private_segment_size 0
		.amdhsa_wavefront_size32 1
		.amdhsa_uses_dynamic_stack 0
		.amdhsa_enable_private_segment 0
		.amdhsa_system_sgpr_workgroup_id_x 1
		.amdhsa_system_sgpr_workgroup_id_y 0
		.amdhsa_system_sgpr_workgroup_id_z 1
		.amdhsa_system_sgpr_workgroup_info 0
		.amdhsa_system_vgpr_workitem_id 0
		.amdhsa_next_free_vgpr 40
		.amdhsa_next_free_sgpr 26
		.amdhsa_named_barrier_count 0
		.amdhsa_reserve_vcc 1
		.amdhsa_float_round_mode_32 0
		.amdhsa_float_round_mode_16_64 0
		.amdhsa_float_denorm_mode_32 3
		.amdhsa_float_denorm_mode_16_64 3
		.amdhsa_fp16_overflow 0
		.amdhsa_memory_ordered 1
		.amdhsa_forward_progress 1
		.amdhsa_inst_pref_size 9
		.amdhsa_round_robin_scheduling 0
		.amdhsa_exception_fp_ieee_invalid_op 0
		.amdhsa_exception_fp_denorm_src 0
		.amdhsa_exception_fp_ieee_div_zero 0
		.amdhsa_exception_fp_ieee_overflow 0
		.amdhsa_exception_fp_ieee_underflow 0
		.amdhsa_exception_fp_ieee_inexact 0
		.amdhsa_exception_int_div_zero 0
	.end_amdhsa_kernel
	.section	.text._ZL20rocblas_tpmvt_kernelILi512EPKPK19rocblas_complex_numIfEPKPS1_S6_EvbbiT0_llT1_lllT2_li,"axG",@progbits,_ZL20rocblas_tpmvt_kernelILi512EPKPK19rocblas_complex_numIfEPKPS1_S6_EvbbiT0_llT1_lllT2_li,comdat
.Lfunc_end19:
	.size	_ZL20rocblas_tpmvt_kernelILi512EPKPK19rocblas_complex_numIfEPKPS1_S6_EvbbiT0_llT1_lllT2_li, .Lfunc_end19-_ZL20rocblas_tpmvt_kernelILi512EPKPK19rocblas_complex_numIfEPKPS1_S6_EvbbiT0_llT1_lllT2_li
                                        ; -- End function
	.set _ZL20rocblas_tpmvt_kernelILi512EPKPK19rocblas_complex_numIfEPKPS1_S6_EvbbiT0_llT1_lllT2_li.num_vgpr, 40
	.set _ZL20rocblas_tpmvt_kernelILi512EPKPK19rocblas_complex_numIfEPKPS1_S6_EvbbiT0_llT1_lllT2_li.num_agpr, 0
	.set _ZL20rocblas_tpmvt_kernelILi512EPKPK19rocblas_complex_numIfEPKPS1_S6_EvbbiT0_llT1_lllT2_li.numbered_sgpr, 26
	.set _ZL20rocblas_tpmvt_kernelILi512EPKPK19rocblas_complex_numIfEPKPS1_S6_EvbbiT0_llT1_lllT2_li.num_named_barrier, 0
	.set _ZL20rocblas_tpmvt_kernelILi512EPKPK19rocblas_complex_numIfEPKPS1_S6_EvbbiT0_llT1_lllT2_li.private_seg_size, 0
	.set _ZL20rocblas_tpmvt_kernelILi512EPKPK19rocblas_complex_numIfEPKPS1_S6_EvbbiT0_llT1_lllT2_li.uses_vcc, 1
	.set _ZL20rocblas_tpmvt_kernelILi512EPKPK19rocblas_complex_numIfEPKPS1_S6_EvbbiT0_llT1_lllT2_li.uses_flat_scratch, 0
	.set _ZL20rocblas_tpmvt_kernelILi512EPKPK19rocblas_complex_numIfEPKPS1_S6_EvbbiT0_llT1_lllT2_li.has_dyn_sized_stack, 0
	.set _ZL20rocblas_tpmvt_kernelILi512EPKPK19rocblas_complex_numIfEPKPS1_S6_EvbbiT0_llT1_lllT2_li.has_recursion, 0
	.set _ZL20rocblas_tpmvt_kernelILi512EPKPK19rocblas_complex_numIfEPKPS1_S6_EvbbiT0_llT1_lllT2_li.has_indirect_call, 0
	.section	.AMDGPU.csdata,"",@progbits
; Kernel info:
; codeLenInByte = 1072
; TotalNumSgprs: 28
; NumVgprs: 40
; ScratchSize: 0
; MemoryBound: 0
; FloatMode: 240
; IeeeMode: 1
; LDSByteSize: 0 bytes/workgroup (compile time only)
; SGPRBlocks: 0
; VGPRBlocks: 2
; NumSGPRsForWavesPerEU: 28
; NumVGPRsForWavesPerEU: 40
; NamedBarCnt: 0
; Occupancy: 16
; WaveLimiterHint : 1
; COMPUTE_PGM_RSRC2:SCRATCH_EN: 0
; COMPUTE_PGM_RSRC2:USER_SGPR: 2
; COMPUTE_PGM_RSRC2:TRAP_HANDLER: 0
; COMPUTE_PGM_RSRC2:TGID_X_EN: 1
; COMPUTE_PGM_RSRC2:TGID_Y_EN: 0
; COMPUTE_PGM_RSRC2:TGID_Z_EN: 1
; COMPUTE_PGM_RSRC2:TIDIG_COMP_CNT: 0
	.section	.text._ZL20rocblas_tpmvc_kernelILi512EPKPK19rocblas_complex_numIfEPKPS1_S6_EvbbiT0_llT1_lllT2_li,"axG",@progbits,_ZL20rocblas_tpmvc_kernelILi512EPKPK19rocblas_complex_numIfEPKPS1_S6_EvbbiT0_llT1_lllT2_li,comdat
	.globl	_ZL20rocblas_tpmvc_kernelILi512EPKPK19rocblas_complex_numIfEPKPS1_S6_EvbbiT0_llT1_lllT2_li ; -- Begin function _ZL20rocblas_tpmvc_kernelILi512EPKPK19rocblas_complex_numIfEPKPS1_S6_EvbbiT0_llT1_lllT2_li
	.p2align	8
	.type	_ZL20rocblas_tpmvc_kernelILi512EPKPK19rocblas_complex_numIfEPKPS1_S6_EvbbiT0_llT1_lllT2_li,@function
_ZL20rocblas_tpmvc_kernelILi512EPKPK19rocblas_complex_numIfEPKPS1_S6_EvbbiT0_llT1_lllT2_li: ; @_ZL20rocblas_tpmvc_kernelILi512EPKPK19rocblas_complex_numIfEPKPS1_S6_EvbbiT0_llT1_lllT2_li
; %bb.0:
	s_load_b32 s20, s[0:1], 0x50
	s_bfe_u32 s2, ttmp6, 0x40014
	s_lshr_b32 s3, ttmp7, 16
	s_add_co_i32 s2, s2, 1
	s_bfe_u32 s5, ttmp6, 0x40008
	s_mul_i32 s4, s3, s2
	s_getreg_b32 s2, hwreg(HW_REG_IB_STS2, 6, 4)
	s_add_co_i32 s5, s5, s4
	s_cmp_eq_u32 s2, 0
	s_mov_b32 s17, 0
	s_cselect_b32 s16, s3, s5
	s_wait_kmcnt 0x0
	s_cmp_ge_u32 s16, s20
	s_cbranch_scc1 .LBB20_21
; %bb.1:
	s_clause 0x4
	s_load_b32 s3, s[0:1], 0x0
	s_load_b64 s[18:19], s[0:1], 0x0
	s_load_b32 s4, s[0:1], 0x64
	s_load_b64 s[22:23], s[0:1], 0x30
	s_load_b128 s[8:11], s[0:1], 0x20
	s_wait_kmcnt 0x0
	s_bitcmp1_b32 s3, 0
	s_cselect_b32 s3, -1, 0
	s_delay_alu instid0(SALU_CYCLE_1)
	s_xor_b32 s21, s3, -1
	s_bitcmp1_b32 s18, 8
	s_cselect_b32 s3, -1, 0
	s_bfe_u32 s5, ttmp6, 0x4000c
	s_and_b32 s6, ttmp6, 15
	s_add_co_i32 s5, s5, 1
	s_and_b32 s4, s4, 0xffff
	s_mul_i32 s5, ttmp9, s5
	s_xor_b32 s18, s3, -1
	s_add_co_i32 s6, s6, s5
	s_cmp_eq_u32 s2, 0
	s_cselect_b32 s2, ttmp9, s6
	s_ashr_i32 s3, s19, 31
	v_mad_u32 v0, s2, s4, v0
	s_load_b128 s[4:7], s[0:1], 0x8
	s_mov_b32 s2, s19
	s_lshl_b64 s[10:11], s[10:11], 3
	s_lshl_b64 s[12:13], s[2:3], 3
	s_delay_alu instid0(SALU_CYCLE_1) | instskip(SKIP_1) | instid1(VALU_DEP_1)
	s_add_nc_u64 s[24:25], s[12:13], -8
	s_load_b128 s[12:15], s[0:1], 0x40
	v_dual_ashrrev_i32 v1, 31, v0 :: v_dual_add_nc_u32 v2, 1, v0
	v_mov_b32_e32 v7, 0
	s_wait_xcnt 0x0
	v_cmp_gt_i32_e64 s0, s19, v0
	v_cmp_lt_i32_e64 s1, 0, v0
	v_add_nc_u64_e32 v[4:5], -1, v[0:1]
	v_dual_mov_b32 v6, v2 :: v_dual_ashrrev_i32 v3, 31, v2
	v_mul_u64_e32 v[16:17], s[2:3], v[0:1]
	v_cmp_gt_i32_e64 s2, s19, v2
	s_wait_kmcnt 0x0
	s_lshl_b64 s[6:7], s[6:7], 3
	v_mul_u64_e32 v[6:7], v[6:7], v[0:1]
	v_mul_u64_e32 v[8:9], v[4:5], v[0:1]
	v_mad_nc_u64_u32 v[10:11], s24, v0, s[6:7]
	v_mul_u64_e32 v[4:5], s[22:23], v[0:1]
	s_delay_alu instid0(VALU_DEP_2) | instskip(NEXT) | instid1(VALU_DEP_1)
	v_mad_u32 v11, s25, v0, v11
	v_mad_u32 v11, s24, v1, v11
	v_lshlrev_b64_e32 v[6:7], 2, v[6:7]
	v_lshrrev_b64 v[18:19], 1, v[8:9]
	s_delay_alu instid0(VALU_DEP_3) | instskip(NEXT) | instid1(VALU_DEP_3)
	v_lshl_add_u64 v[10:11], v[2:3], 3, v[10:11]
	v_and_b32_e32 v6, -8, v6
	s_delay_alu instid0(VALU_DEP_3) | instskip(SKIP_1) | instid1(VALU_DEP_3)
	v_lshlrev_b64_e32 v[8:9], 3, v[18:19]
	v_sub_nc_u64_e32 v[16:17], v[16:17], v[18:19]
	v_add_nc_u64_e32 v[6:7], s[6:7], v[6:7]
	s_delay_alu instid0(VALU_DEP_3) | instskip(SKIP_2) | instid1(VALU_DEP_3)
	v_sub_nc_u64_e32 v[8:9], v[10:11], v[8:9]
	v_lshl_add_u64 v[10:11], v[0:1], 3, s[12:13]
	s_lshl_b64 s[12:13], s[22:23], 3
	v_or_b32_e32 v6, 4, v6
	s_delay_alu instid0(VALU_DEP_3) | instskip(SKIP_3) | instid1(VALU_DEP_3)
	v_or_b32_e32 v8, 4, v8
	v_mul_u64_e32 v[12:13], v[2:3], v[0:1]
	v_mul_u64_e32 v[14:15], s[22:23], v[2:3]
	v_cndmask_b32_e64 v3, 0, 1, s18
	v_lshrrev_b64 v[12:13], 1, v[12:13]
	s_delay_alu instid0(VALU_DEP_3)
	v_lshl_add_u64 v[14:15], v[14:15], 3, s[10:11]
	s_branch .LBB20_5
.LBB20_2:                               ;   in Loop: Header=BB20_5 Depth=1
	s_or_b32 exec_lo, exec_lo, s3
	s_wait_loadcnt_dscnt 0x0
	v_mov_b64_e32 v[26:27], v[18:19]
.LBB20_3:                               ;   in Loop: Header=BB20_5 Depth=1
	s_mul_u64 s[24:25], s[14:15], s[16:17]
	s_wait_loadcnt_dscnt 0x0
	s_wait_xcnt 0x0
	v_lshl_add_u64 v[18:19], s[24:25], 3, v[10:11]
	global_store_b64 v[18:19], v[26:27], off
.LBB20_4:                               ;   in Loop: Header=BB20_5 Depth=1
	s_wait_xcnt 0x0
	s_or_b32 exec_lo, exec_lo, s22
	s_add_co_i32 s16, s16, 0x10000
	s_delay_alu instid0(SALU_CYCLE_1)
	s_cmp_lt_u32 s16, s20
	s_cbranch_scc0 .LBB20_21
.LBB20_5:                               ; =>This Loop Header: Depth=1
                                        ;     Child Loop BB20_11 Depth 2
                                        ;     Child Loop BB20_19 Depth 2
	s_and_saveexec_b32 s22, s0
	s_cbranch_execz .LBB20_4
; %bb.6:                                ;   in Loop: Header=BB20_5 Depth=1
	v_mov_b32_e32 v18, s16
	v_cmp_ne_u32_e64 s3, 1, v3
	s_and_b32 vcc_lo, exec_lo, s21
	s_mov_b32 s23, -1
                                        ; implicit-def: $vgpr26_vgpr27
	s_clause 0x1
	global_load_b64 v[28:29], v18, s[8:9] scale_offset
	global_load_b64 v[22:23], v18, s[4:5] scale_offset
	s_wait_loadcnt 0x1
	v_add_nc_u64_e32 v[20:21], s[10:11], v[28:29]
	s_wait_loadcnt 0x0
	v_add_nc_u64_e32 v[24:25], s[6:7], v[22:23]
	s_wait_xcnt 0x0
	s_delay_alu instid0(VALU_DEP_2)
	v_lshl_add_u64 v[18:19], v[4:5], 3, v[20:21]
	flat_load_b64 v[18:19], v[18:19]
	s_cbranch_vccz .LBB20_14
; %bb.7:                                ;   in Loop: Header=BB20_5 Depth=1
	s_wait_loadcnt_dscnt 0x0
	v_mov_b64_e32 v[26:27], v[18:19]
	s_and_b32 vcc_lo, exec_lo, s3
	s_cbranch_vccnz .LBB20_9
; %bb.8:                                ;   in Loop: Header=BB20_5 Depth=1
	v_lshl_add_u64 v[26:27], v[16:17], 3, v[24:25]
	flat_load_b64 v[26:27], v[26:27]
	s_wait_loadcnt_dscnt 0x0
	v_pk_mul_f32 v[30:31], v[18:19], v[26:27] op_sel:[1,1] op_sel_hi:[0,1]
	s_delay_alu instid0(VALU_DEP_1) | instskip(SKIP_2) | instid1(VALU_DEP_2)
	v_pk_fma_f32 v[32:33], v[18:19], v[26:27], v[30:31] op_sel_hi:[1,0,1] neg_lo:[0,0,1] neg_hi:[0,0,1]
	s_wait_xcnt 0x0
	v_pk_fma_f32 v[26:27], v[18:19], v[26:27], v[30:31]
	v_mov_b32_e32 v27, v33
.LBB20_9:                               ;   in Loop: Header=BB20_5 Depth=1
	s_wait_xcnt 0x0
	s_and_saveexec_b32 s3, s2
	s_cbranch_execz .LBB20_13
; %bb.10:                               ;   in Loop: Header=BB20_5 Depth=1
	v_add_nc_u64_e32 v[28:29], v[28:29], v[14:15]
	v_add_nc_u64_e32 v[30:31], v[22:23], v[8:9]
	v_mov_b32_e32 v32, v2
	s_mov_b32 s23, 0
.LBB20_11:                              ;   Parent Loop BB20_5 Depth=1
                                        ; =>  This Inner Loop Header: Depth=2
	flat_load_b64 v[34:35], v[30:31] offset:-4
	flat_load_b64 v[36:37], v[28:29]
	s_wait_xcnt 0x0
	v_add_nc_u64_e32 v[28:29], s[12:13], v[28:29]
	v_add_nc_u64_e32 v[30:31], 8, v[30:31]
	s_wait_loadcnt_dscnt 0x0
	v_pk_mul_f32 v[38:39], v[34:35], v[36:37] op_sel:[1,1] op_sel_hi:[1,0]
	s_delay_alu instid0(VALU_DEP_1) | instskip(SKIP_2) | instid1(VALU_DEP_3)
	v_pk_fma_f32 v[40:41], v[34:35], v[36:37], v[38:39] op_sel_hi:[0,1,1] neg_lo:[0,0,1] neg_hi:[0,0,1]
	v_add_nc_u32_e32 v32, 1, v32
	v_pk_fma_f32 v[34:35], v[34:35], v[36:37], v[38:39]
	v_mov_b32_e32 v35, v41
	s_delay_alu instid0(VALU_DEP_3) | instskip(NEXT) | instid1(VALU_DEP_2)
	v_cmp_le_i32_e32 vcc_lo, s19, v32
	v_pk_add_f32 v[26:27], v[26:27], v[34:35]
	s_or_b32 s23, vcc_lo, s23
	s_delay_alu instid0(SALU_CYCLE_1)
	s_and_not1_b32 exec_lo, exec_lo, s23
	s_cbranch_execnz .LBB20_11
; %bb.12:                               ;   in Loop: Header=BB20_5 Depth=1
	s_or_b32 exec_lo, exec_lo, s23
.LBB20_13:                              ;   in Loop: Header=BB20_5 Depth=1
	s_delay_alu instid0(SALU_CYCLE_1)
	s_or_b32 exec_lo, exec_lo, s3
	s_mov_b32 s23, 0
.LBB20_14:                              ;   in Loop: Header=BB20_5 Depth=1
	s_delay_alu instid0(SALU_CYCLE_1)
	s_and_b32 vcc_lo, exec_lo, s23
	s_cbranch_vccz .LBB20_3
; %bb.15:                               ;   in Loop: Header=BB20_5 Depth=1
	s_and_not1_b32 vcc_lo, exec_lo, s18
	s_cbranch_vccnz .LBB20_17
; %bb.16:                               ;   in Loop: Header=BB20_5 Depth=1
	v_lshl_add_u64 v[24:25], v[12:13], 3, v[24:25]
	s_delay_alu instid0(VALU_DEP_1) | instskip(SKIP_3) | instid1(VALU_DEP_1)
	v_lshl_add_u64 v[24:25], v[0:1], 3, v[24:25]
	flat_load_b64 v[24:25], v[24:25]
	s_wait_loadcnt_dscnt 0x0
	v_pk_mul_f32 v[26:27], v[18:19], v[24:25] op_sel:[1,1] op_sel_hi:[0,1]
	v_pk_fma_f32 v[28:29], v[18:19], v[24:25], v[26:27] op_sel_hi:[1,0,1] neg_lo:[0,0,1] neg_hi:[0,0,1]
	s_wait_xcnt 0x1
	v_pk_fma_f32 v[18:19], v[18:19], v[24:25], v[26:27]
	s_delay_alu instid0(VALU_DEP_2)
	v_mov_b32_e32 v19, v29
.LBB20_17:                              ;   in Loop: Header=BB20_5 Depth=1
	s_wait_xcnt 0x0
	s_and_saveexec_b32 s3, s1
	s_cbranch_execz .LBB20_2
; %bb.18:                               ;   in Loop: Header=BB20_5 Depth=1
	v_add_nc_u64_e32 v[22:23], v[22:23], v[6:7]
	v_mov_b32_e32 v24, v0
	s_mov_b32 s23, 0
.LBB20_19:                              ;   Parent Loop BB20_5 Depth=1
                                        ; =>  This Inner Loop Header: Depth=2
	flat_load_b64 v[26:27], v[22:23] offset:-4
	flat_load_b64 v[28:29], v[20:21]
	s_wait_xcnt 0x0
	v_add_nc_u64_e32 v[20:21], s[12:13], v[20:21]
	v_add_nc_u64_e32 v[22:23], 8, v[22:23]
	s_wait_loadcnt_dscnt 0x0
	v_pk_mul_f32 v[30:31], v[26:27], v[28:29] op_sel:[1,1] op_sel_hi:[1,0]
	s_delay_alu instid0(VALU_DEP_1) | instskip(SKIP_2) | instid1(VALU_DEP_3)
	v_pk_fma_f32 v[32:33], v[26:27], v[28:29], v[30:31] op_sel_hi:[0,1,1] neg_lo:[0,0,1] neg_hi:[0,0,1]
	v_add_nc_u32_e32 v24, -1, v24
	v_pk_fma_f32 v[26:27], v[26:27], v[28:29], v[30:31]
	v_mov_b32_e32 v27, v33
	s_delay_alu instid0(VALU_DEP_3) | instskip(NEXT) | instid1(VALU_DEP_2)
	v_cmp_eq_u32_e32 vcc_lo, 0, v24
	v_pk_add_f32 v[18:19], v[18:19], v[26:27]
	s_or_b32 s23, vcc_lo, s23
	s_delay_alu instid0(SALU_CYCLE_1)
	s_and_not1_b32 exec_lo, exec_lo, s23
	s_cbranch_execnz .LBB20_19
; %bb.20:                               ;   in Loop: Header=BB20_5 Depth=1
	s_or_b32 exec_lo, exec_lo, s23
	s_branch .LBB20_2
.LBB20_21:
	s_endpgm
	.section	.rodata,"a",@progbits
	.p2align	6, 0x0
	.amdhsa_kernel _ZL20rocblas_tpmvc_kernelILi512EPKPK19rocblas_complex_numIfEPKPS1_S6_EvbbiT0_llT1_lllT2_li
		.amdhsa_group_segment_fixed_size 0
		.amdhsa_private_segment_fixed_size 0
		.amdhsa_kernarg_size 344
		.amdhsa_user_sgpr_count 2
		.amdhsa_user_sgpr_dispatch_ptr 0
		.amdhsa_user_sgpr_queue_ptr 0
		.amdhsa_user_sgpr_kernarg_segment_ptr 1
		.amdhsa_user_sgpr_dispatch_id 0
		.amdhsa_user_sgpr_kernarg_preload_length 0
		.amdhsa_user_sgpr_kernarg_preload_offset 0
		.amdhsa_user_sgpr_private_segment_size 0
		.amdhsa_wavefront_size32 1
		.amdhsa_uses_dynamic_stack 0
		.amdhsa_enable_private_segment 0
		.amdhsa_system_sgpr_workgroup_id_x 1
		.amdhsa_system_sgpr_workgroup_id_y 0
		.amdhsa_system_sgpr_workgroup_id_z 1
		.amdhsa_system_sgpr_workgroup_info 0
		.amdhsa_system_vgpr_workitem_id 0
		.amdhsa_next_free_vgpr 42
		.amdhsa_next_free_sgpr 26
		.amdhsa_named_barrier_count 0
		.amdhsa_reserve_vcc 1
		.amdhsa_float_round_mode_32 0
		.amdhsa_float_round_mode_16_64 0
		.amdhsa_float_denorm_mode_32 3
		.amdhsa_float_denorm_mode_16_64 3
		.amdhsa_fp16_overflow 0
		.amdhsa_memory_ordered 1
		.amdhsa_forward_progress 1
		.amdhsa_inst_pref_size 9
		.amdhsa_round_robin_scheduling 0
		.amdhsa_exception_fp_ieee_invalid_op 0
		.amdhsa_exception_fp_denorm_src 0
		.amdhsa_exception_fp_ieee_div_zero 0
		.amdhsa_exception_fp_ieee_overflow 0
		.amdhsa_exception_fp_ieee_underflow 0
		.amdhsa_exception_fp_ieee_inexact 0
		.amdhsa_exception_int_div_zero 0
	.end_amdhsa_kernel
	.section	.text._ZL20rocblas_tpmvc_kernelILi512EPKPK19rocblas_complex_numIfEPKPS1_S6_EvbbiT0_llT1_lllT2_li,"axG",@progbits,_ZL20rocblas_tpmvc_kernelILi512EPKPK19rocblas_complex_numIfEPKPS1_S6_EvbbiT0_llT1_lllT2_li,comdat
.Lfunc_end20:
	.size	_ZL20rocblas_tpmvc_kernelILi512EPKPK19rocblas_complex_numIfEPKPS1_S6_EvbbiT0_llT1_lllT2_li, .Lfunc_end20-_ZL20rocblas_tpmvc_kernelILi512EPKPK19rocblas_complex_numIfEPKPS1_S6_EvbbiT0_llT1_lllT2_li
                                        ; -- End function
	.set _ZL20rocblas_tpmvc_kernelILi512EPKPK19rocblas_complex_numIfEPKPS1_S6_EvbbiT0_llT1_lllT2_li.num_vgpr, 42
	.set _ZL20rocblas_tpmvc_kernelILi512EPKPK19rocblas_complex_numIfEPKPS1_S6_EvbbiT0_llT1_lllT2_li.num_agpr, 0
	.set _ZL20rocblas_tpmvc_kernelILi512EPKPK19rocblas_complex_numIfEPKPS1_S6_EvbbiT0_llT1_lllT2_li.numbered_sgpr, 26
	.set _ZL20rocblas_tpmvc_kernelILi512EPKPK19rocblas_complex_numIfEPKPS1_S6_EvbbiT0_llT1_lllT2_li.num_named_barrier, 0
	.set _ZL20rocblas_tpmvc_kernelILi512EPKPK19rocblas_complex_numIfEPKPS1_S6_EvbbiT0_llT1_lllT2_li.private_seg_size, 0
	.set _ZL20rocblas_tpmvc_kernelILi512EPKPK19rocblas_complex_numIfEPKPS1_S6_EvbbiT0_llT1_lllT2_li.uses_vcc, 1
	.set _ZL20rocblas_tpmvc_kernelILi512EPKPK19rocblas_complex_numIfEPKPS1_S6_EvbbiT0_llT1_lllT2_li.uses_flat_scratch, 0
	.set _ZL20rocblas_tpmvc_kernelILi512EPKPK19rocblas_complex_numIfEPKPS1_S6_EvbbiT0_llT1_lllT2_li.has_dyn_sized_stack, 0
	.set _ZL20rocblas_tpmvc_kernelILi512EPKPK19rocblas_complex_numIfEPKPS1_S6_EvbbiT0_llT1_lllT2_li.has_recursion, 0
	.set _ZL20rocblas_tpmvc_kernelILi512EPKPK19rocblas_complex_numIfEPKPS1_S6_EvbbiT0_llT1_lllT2_li.has_indirect_call, 0
	.section	.AMDGPU.csdata,"",@progbits
; Kernel info:
; codeLenInByte = 1096
; TotalNumSgprs: 28
; NumVgprs: 42
; ScratchSize: 0
; MemoryBound: 0
; FloatMode: 240
; IeeeMode: 1
; LDSByteSize: 0 bytes/workgroup (compile time only)
; SGPRBlocks: 0
; VGPRBlocks: 2
; NumSGPRsForWavesPerEU: 28
; NumVGPRsForWavesPerEU: 42
; NamedBarCnt: 0
; Occupancy: 16
; WaveLimiterHint : 1
; COMPUTE_PGM_RSRC2:SCRATCH_EN: 0
; COMPUTE_PGM_RSRC2:USER_SGPR: 2
; COMPUTE_PGM_RSRC2:TRAP_HANDLER: 0
; COMPUTE_PGM_RSRC2:TGID_X_EN: 1
; COMPUTE_PGM_RSRC2:TGID_Y_EN: 0
; COMPUTE_PGM_RSRC2:TGID_Z_EN: 1
; COMPUTE_PGM_RSRC2:TIDIG_COMP_CNT: 0
	.section	.text._ZL20rocblas_tpmvn_kernelILi512EPKPK19rocblas_complex_numIdEPKPS1_S6_EvbbiT0_llT1_lllT2_li,"axG",@progbits,_ZL20rocblas_tpmvn_kernelILi512EPKPK19rocblas_complex_numIdEPKPS1_S6_EvbbiT0_llT1_lllT2_li,comdat
	.globl	_ZL20rocblas_tpmvn_kernelILi512EPKPK19rocblas_complex_numIdEPKPS1_S6_EvbbiT0_llT1_lllT2_li ; -- Begin function _ZL20rocblas_tpmvn_kernelILi512EPKPK19rocblas_complex_numIdEPKPS1_S6_EvbbiT0_llT1_lllT2_li
	.p2align	8
	.type	_ZL20rocblas_tpmvn_kernelILi512EPKPK19rocblas_complex_numIdEPKPS1_S6_EvbbiT0_llT1_lllT2_li,@function
_ZL20rocblas_tpmvn_kernelILi512EPKPK19rocblas_complex_numIdEPKPS1_S6_EvbbiT0_llT1_lllT2_li: ; @_ZL20rocblas_tpmvn_kernelILi512EPKPK19rocblas_complex_numIdEPKPS1_S6_EvbbiT0_llT1_lllT2_li
; %bb.0:
	s_load_b32 s33, s[0:1], 0x50
	s_bfe_u32 s2, ttmp6, 0x40014
	s_lshr_b32 s3, ttmp7, 16
	s_add_co_i32 s2, s2, 1
	s_bfe_u32 s5, ttmp6, 0x40008
	s_mul_i32 s4, s3, s2
	s_getreg_b32 s2, hwreg(HW_REG_IB_STS2, 6, 4)
	s_add_co_i32 s5, s5, s4
	s_cmp_eq_u32 s2, 0
	s_mov_b32 s17, 0
	s_cselect_b32 s16, s3, s5
	s_wait_kmcnt 0x0
	s_cmp_ge_u32 s16, s33
	s_cbranch_scc1 .LBB21_21
; %bb.1:
	s_clause 0x4
	s_load_b32 s3, s[0:1], 0x0
	s_load_b64 s[18:19], s[0:1], 0x0
	s_load_b32 s4, s[0:1], 0x64
	s_load_b64 s[24:25], s[0:1], 0x30
	s_load_b128 s[12:15], s[0:1], 0x8
	v_mov_b32_e32 v25, 0
	s_wait_kmcnt 0x0
	s_bitcmp1_b32 s3, 0
	s_mov_b32 s20, s19
	s_cselect_b32 s3, -1, 0
	s_delay_alu instid0(SALU_CYCLE_1)
	s_xor_b32 s38, s3, -1
	s_bitcmp1_b32 s18, 8
	s_cselect_b32 s3, -1, 0
	s_bfe_u32 s5, ttmp6, 0x4000c
	s_and_b32 s6, ttmp6, 15
	s_add_co_i32 s5, s5, 1
	s_and_b32 s4, s4, 0xffff
	s_mul_i32 s5, ttmp9, s5
	s_xor_b32 s18, s3, -1
	s_add_co_i32 s6, s6, s5
	s_cmp_eq_u32 s2, 0
	v_cndmask_b32_e64 v30, 0, 1, s18
	s_cselect_b32 s2, ttmp9, s6
	s_ashr_i32 s21, s19, 31
	v_mad_u32 v8, s2, s4, v0
	s_clause 0x1
	s_load_b128 s[4:7], s[0:1], 0x20
	s_load_b128 s[8:11], s[0:1], 0x40
	s_lshl_b64 s[14:15], s[14:15], 4
	s_delay_alu instid0(VALU_DEP_1)
	v_dual_ashrrev_i32 v9, 31, v8 :: v_dual_add_nc_u32 v10, 1, v8
	v_add_nc_u32_e32 v14, 2, v8
	s_wait_xcnt 0x0
	v_cmp_gt_i32_e64 s0, s19, v8
	v_cmp_lt_i32_e64 s1, 0, v8
	v_add_nc_u64_e32 v[0:1], -1, v[8:9]
	v_ashrrev_i32_e32 v11, 31, v10
	v_mul_u64_e32 v[4:5], s[20:21], v[8:9]
	v_mul_u64_e32 v[12:13], s[24:25], v[8:9]
	s_wait_kmcnt 0x0
	s_lshl_b64 s[6:7], s[6:7], 4
	v_cmp_gt_i32_e64 s2, s19, v10
	v_mul_u64_e32 v[2:3], v[10:11], v[8:9]
	v_mul_u64_e32 v[0:1], v[0:1], v[8:9]
	;; [unrolled: 1-line block ×3, first 2 shown]
	s_or_b32 s22, s6, 8
	s_mov_b32 s23, s7
	v_lshl_add_u64 v[16:17], v[8:9], 4, s[8:9]
	v_ashrrev_i32_e32 v15, 31, v14
	s_lshl_b64 s[8:9], s[24:25], 4
	v_lshrrev_b64 v[18:19], 1, v[2:3]
	v_lshrrev_b64 v[0:1], 1, v[0:1]
	v_lshl_add_u64 v[22:23], v[6:7], 4, s[22:23]
	s_delay_alu instid0(VALU_DEP_2)
	v_sub_nc_u64_e32 v[20:21], v[4:5], v[0:1]
	s_branch .LBB21_5
.LBB21_2:                               ;   in Loop: Header=BB21_5 Depth=1
	s_or_b32 exec_lo, exec_lo, s3
	s_wait_loadcnt_dscnt 0x0
	s_delay_alu instid0(VALU_DEP_1) | instskip(NEXT) | instid1(VALU_DEP_3)
	v_mov_b64_e32 v[6:7], v[2:3]
	v_mov_b64_e32 v[4:5], v[0:1]
.LBB21_3:                               ;   in Loop: Header=BB21_5 Depth=1
	s_mul_u64 s[24:25], s[10:11], s[16:17]
	s_wait_loadcnt_dscnt 0x0
	s_wait_xcnt 0x0
	v_lshl_add_u64 v[0:1], s[24:25], 4, v[16:17]
	global_store_b128 v[0:1], v[4:7], off
.LBB21_4:                               ;   in Loop: Header=BB21_5 Depth=1
	s_wait_xcnt 0x0
	s_or_b32 exec_lo, exec_lo, s39
	s_add_co_i32 s16, s16, 0x10000
	s_delay_alu instid0(SALU_CYCLE_1)
	s_cmp_lt_u32 s16, s33
	s_cbranch_scc0 .LBB21_21
.LBB21_5:                               ; =>This Loop Header: Depth=1
                                        ;     Child Loop BB21_11 Depth 2
                                        ;     Child Loop BB21_19 Depth 2
	s_and_saveexec_b32 s39, s0
	s_cbranch_execz .LBB21_4
; %bb.6:                                ;   in Loop: Header=BB21_5 Depth=1
	s_load_b64 s[24:25], s[4:5], s16 offset:0x0 scale_offset
	v_cmp_ne_u32_e64 s3, 1, v30
	s_and_b32 vcc_lo, exec_lo, s38
	s_mov_b32 s28, -1
                                        ; implicit-def: $vgpr6_vgpr7
	s_wait_kmcnt 0x0
	s_add_nc_u64 s[26:27], s[24:25], s[6:7]
	s_delay_alu instid0(SALU_CYCLE_1)
	v_lshl_add_u64 v[0:1], v[12:13], 4, s[26:27]
	s_load_b64 s[26:27], s[12:13], s16 offset:0x0 scale_offset
	flat_load_b128 v[0:3], v[0:1]
	s_wait_kmcnt 0x0
	s_add_nc_u64 s[26:27], s[26:27], s[14:15]
	s_cbranch_vccz .LBB21_14
; %bb.7:                                ;   in Loop: Header=BB21_5 Depth=1
	s_wait_loadcnt_dscnt 0x0
	v_mov_b64_e32 v[4:5], v[0:1]
	v_mov_b64_e32 v[6:7], v[2:3]
	s_and_b32 vcc_lo, exec_lo, s3
	s_cbranch_vccnz .LBB21_9
; %bb.8:                                ;   in Loop: Header=BB21_5 Depth=1
	v_lshl_add_u64 v[4:5], v[20:21], 4, s[26:27]
	flat_load_b128 v[26:29], v[4:5]
	s_wait_loadcnt_dscnt 0x0
	s_wait_xcnt 0x0
	v_mul_f64_e32 v[4:5], v[2:3], v[28:29]
	v_mul_f64_e32 v[6:7], v[0:1], v[28:29]
	s_delay_alu instid0(VALU_DEP_2) | instskip(NEXT) | instid1(VALU_DEP_2)
	v_fma_f64 v[4:5], v[0:1], v[26:27], -v[4:5]
	v_fmac_f64_e32 v[6:7], v[2:3], v[26:27]
.LBB21_9:                               ;   in Loop: Header=BB21_5 Depth=1
	s_wait_xcnt 0x0
	s_and_saveexec_b32 s3, s1
	s_cbranch_execz .LBB21_13
; %bb.10:                               ;   in Loop: Header=BB21_5 Depth=1
	v_mov_b32_e32 v24, v8
	s_add_nc_u64 s[28:29], s[24:25], s[22:23]
	s_mov_b64 s[30:31], 0
	s_mov_b32 s40, 0
	s_mov_b64 s[36:37], 0
	s_mov_b64 s[34:35], 0
.LBB21_11:                              ;   Parent Loop BB21_5 Depth=1
                                        ; =>  This Inner Loop Header: Depth=2
	s_delay_alu instid0(SALU_CYCLE_1) | instskip(SKIP_4) | instid1(VALU_DEP_2)
	v_add_nc_u64_e32 v[26:27], s[34:35], v[24:25]
	s_lshr_b64 s[42:43], s[30:31], 1
	s_add_nc_u64 s[34:35], s[34:35], s[20:21]
	s_add_nc_u64 s[30:31], s[30:31], s[36:37]
	v_add_nc_u32_e32 v24, -1, v24
	v_sub_nc_u64_e64 v[26:27], v[26:27], s[42:43]
	s_add_nc_u64 s[42:43], s[36:37], 2
	s_delay_alu instid0(VALU_DEP_2) | instskip(SKIP_1) | instid1(VALU_DEP_2)
	v_cmp_eq_u32_e32 vcc_lo, 0, v24
	s_mov_b64 s[36:37], s[42:43]
	v_lshl_add_u64 v[36:37], v[26:27], 4, s[26:27]
	flat_load_b128 v[26:29], v25, s[28:29] offset:-8
	flat_load_b128 v[32:35], v[36:37]
	s_wait_xcnt 0x1
	s_add_nc_u64 s[28:29], s[28:29], s[8:9]
	s_or_b32 s40, vcc_lo, s40
	s_wait_loadcnt_dscnt 0x0
	s_wait_xcnt 0x0
	v_mul_f64_e32 v[36:37], v[28:29], v[34:35]
	v_mul_f64_e32 v[34:35], v[26:27], v[34:35]
	s_delay_alu instid0(VALU_DEP_2) | instskip(NEXT) | instid1(VALU_DEP_2)
	v_fma_f64 v[26:27], v[26:27], v[32:33], -v[36:37]
	v_fmac_f64_e32 v[34:35], v[28:29], v[32:33]
	s_delay_alu instid0(VALU_DEP_2) | instskip(NEXT) | instid1(VALU_DEP_2)
	v_add_f64_e32 v[4:5], v[4:5], v[26:27]
	v_add_f64_e32 v[6:7], v[6:7], v[34:35]
	s_and_not1_b32 exec_lo, exec_lo, s40
	s_cbranch_execnz .LBB21_11
; %bb.12:                               ;   in Loop: Header=BB21_5 Depth=1
	s_or_b32 exec_lo, exec_lo, s40
.LBB21_13:                              ;   in Loop: Header=BB21_5 Depth=1
	s_delay_alu instid0(SALU_CYCLE_1)
	s_or_b32 exec_lo, exec_lo, s3
	s_mov_b32 s28, 0
.LBB21_14:                              ;   in Loop: Header=BB21_5 Depth=1
	s_delay_alu instid0(SALU_CYCLE_1)
	s_and_b32 vcc_lo, exec_lo, s28
	s_cbranch_vccz .LBB21_3
; %bb.15:                               ;   in Loop: Header=BB21_5 Depth=1
	s_and_not1_b32 vcc_lo, exec_lo, s18
	s_cbranch_vccnz .LBB21_17
; %bb.16:                               ;   in Loop: Header=BB21_5 Depth=1
	v_lshl_add_u64 v[4:5], v[18:19], 4, s[26:27]
	s_delay_alu instid0(VALU_DEP_1)
	v_lshl_add_u64 v[4:5], v[8:9], 4, v[4:5]
	flat_load_b128 v[4:7], v[4:5]
	s_wait_loadcnt_dscnt 0x0
	v_mul_f64_e32 v[26:27], v[2:3], v[6:7]
	v_mul_f64_e32 v[6:7], v[0:1], v[6:7]
	s_wait_xcnt 0x1
	s_delay_alu instid0(VALU_DEP_2) | instskip(NEXT) | instid1(VALU_DEP_2)
	v_fma_f64 v[0:1], v[0:1], v[4:5], -v[26:27]
	v_fmac_f64_e32 v[6:7], v[2:3], v[4:5]
	s_delay_alu instid0(VALU_DEP_1)
	v_mov_b64_e32 v[2:3], v[6:7]
.LBB21_17:                              ;   in Loop: Header=BB21_5 Depth=1
	s_wait_xcnt 0x0
	s_and_saveexec_b32 s3, s2
	s_cbranch_execz .LBB21_2
; %bb.18:                               ;   in Loop: Header=BB21_5 Depth=1
	v_add_nc_u64_e32 v[6:7], s[24:25], v[22:23]
	v_mov_b64_e32 v[28:29], v[10:11]
	v_mov_b64_e32 v[26:27], v[14:15]
	v_lshl_add_u64 v[4:5], v[8:9], 4, s[26:27]
	s_mov_b32 s24, 0
.LBB21_19:                              ;   Parent Loop BB21_5 Depth=1
                                        ; =>  This Inner Loop Header: Depth=2
	s_delay_alu instid0(VALU_DEP_2) | instskip(SKIP_2) | instid1(VALU_DEP_2)
	v_mul_u64_e32 v[32:33], v[26:27], v[28:29]
	v_add_nc_u64_e32 v[28:29], 1, v[28:29]
	v_add_nc_u64_e32 v[26:27], 1, v[26:27]
	v_cmp_le_i32_e32 vcc_lo, s19, v28
	s_or_b32 s24, vcc_lo, s24
	s_delay_alu instid0(VALU_DEP_4) | instskip(NEXT) | instid1(VALU_DEP_1)
	v_lshlrev_b64_e32 v[32:33], 3, v[32:33]
	v_and_b32_e32 v32, -16, v32
	s_delay_alu instid0(VALU_DEP_1)
	v_add_nc_u64_e32 v[40:41], v[4:5], v[32:33]
	flat_load_b128 v[32:35], v[6:7] offset:-8
	flat_load_b128 v[36:39], v[40:41]
	s_wait_xcnt 0x1
	v_add_nc_u64_e32 v[6:7], s[8:9], v[6:7]
	s_wait_loadcnt_dscnt 0x0
	s_wait_xcnt 0x0
	v_mul_f64_e32 v[40:41], v[34:35], v[38:39]
	v_mul_f64_e32 v[38:39], v[32:33], v[38:39]
	s_delay_alu instid0(VALU_DEP_2) | instskip(NEXT) | instid1(VALU_DEP_2)
	v_fma_f64 v[32:33], v[32:33], v[36:37], -v[40:41]
	v_fmac_f64_e32 v[38:39], v[34:35], v[36:37]
	s_delay_alu instid0(VALU_DEP_2) | instskip(NEXT) | instid1(VALU_DEP_2)
	v_add_f64_e32 v[0:1], v[0:1], v[32:33]
	v_add_f64_e32 v[2:3], v[2:3], v[38:39]
	s_and_not1_b32 exec_lo, exec_lo, s24
	s_cbranch_execnz .LBB21_19
; %bb.20:                               ;   in Loop: Header=BB21_5 Depth=1
	s_or_b32 exec_lo, exec_lo, s24
	s_branch .LBB21_2
.LBB21_21:
	s_endpgm
	.section	.rodata,"a",@progbits
	.p2align	6, 0x0
	.amdhsa_kernel _ZL20rocblas_tpmvn_kernelILi512EPKPK19rocblas_complex_numIdEPKPS1_S6_EvbbiT0_llT1_lllT2_li
		.amdhsa_group_segment_fixed_size 0
		.amdhsa_private_segment_fixed_size 0
		.amdhsa_kernarg_size 344
		.amdhsa_user_sgpr_count 2
		.amdhsa_user_sgpr_dispatch_ptr 0
		.amdhsa_user_sgpr_queue_ptr 0
		.amdhsa_user_sgpr_kernarg_segment_ptr 1
		.amdhsa_user_sgpr_dispatch_id 0
		.amdhsa_user_sgpr_kernarg_preload_length 0
		.amdhsa_user_sgpr_kernarg_preload_offset 0
		.amdhsa_user_sgpr_private_segment_size 0
		.amdhsa_wavefront_size32 1
		.amdhsa_uses_dynamic_stack 0
		.amdhsa_enable_private_segment 0
		.amdhsa_system_sgpr_workgroup_id_x 1
		.amdhsa_system_sgpr_workgroup_id_y 0
		.amdhsa_system_sgpr_workgroup_id_z 1
		.amdhsa_system_sgpr_workgroup_info 0
		.amdhsa_system_vgpr_workitem_id 0
		.amdhsa_next_free_vgpr 42
		.amdhsa_next_free_sgpr 44
		.amdhsa_named_barrier_count 0
		.amdhsa_reserve_vcc 1
		.amdhsa_float_round_mode_32 0
		.amdhsa_float_round_mode_16_64 0
		.amdhsa_float_denorm_mode_32 3
		.amdhsa_float_denorm_mode_16_64 3
		.amdhsa_fp16_overflow 0
		.amdhsa_memory_ordered 1
		.amdhsa_forward_progress 1
		.amdhsa_inst_pref_size 9
		.amdhsa_round_robin_scheduling 0
		.amdhsa_exception_fp_ieee_invalid_op 0
		.amdhsa_exception_fp_denorm_src 0
		.amdhsa_exception_fp_ieee_div_zero 0
		.amdhsa_exception_fp_ieee_overflow 0
		.amdhsa_exception_fp_ieee_underflow 0
		.amdhsa_exception_fp_ieee_inexact 0
		.amdhsa_exception_int_div_zero 0
	.end_amdhsa_kernel
	.section	.text._ZL20rocblas_tpmvn_kernelILi512EPKPK19rocblas_complex_numIdEPKPS1_S6_EvbbiT0_llT1_lllT2_li,"axG",@progbits,_ZL20rocblas_tpmvn_kernelILi512EPKPK19rocblas_complex_numIdEPKPS1_S6_EvbbiT0_llT1_lllT2_li,comdat
.Lfunc_end21:
	.size	_ZL20rocblas_tpmvn_kernelILi512EPKPK19rocblas_complex_numIdEPKPS1_S6_EvbbiT0_llT1_lllT2_li, .Lfunc_end21-_ZL20rocblas_tpmvn_kernelILi512EPKPK19rocblas_complex_numIdEPKPS1_S6_EvbbiT0_llT1_lllT2_li
                                        ; -- End function
	.set _ZL20rocblas_tpmvn_kernelILi512EPKPK19rocblas_complex_numIdEPKPS1_S6_EvbbiT0_llT1_lllT2_li.num_vgpr, 42
	.set _ZL20rocblas_tpmvn_kernelILi512EPKPK19rocblas_complex_numIdEPKPS1_S6_EvbbiT0_llT1_lllT2_li.num_agpr, 0
	.set _ZL20rocblas_tpmvn_kernelILi512EPKPK19rocblas_complex_numIdEPKPS1_S6_EvbbiT0_llT1_lllT2_li.numbered_sgpr, 44
	.set _ZL20rocblas_tpmvn_kernelILi512EPKPK19rocblas_complex_numIdEPKPS1_S6_EvbbiT0_llT1_lllT2_li.num_named_barrier, 0
	.set _ZL20rocblas_tpmvn_kernelILi512EPKPK19rocblas_complex_numIdEPKPS1_S6_EvbbiT0_llT1_lllT2_li.private_seg_size, 0
	.set _ZL20rocblas_tpmvn_kernelILi512EPKPK19rocblas_complex_numIdEPKPS1_S6_EvbbiT0_llT1_lllT2_li.uses_vcc, 1
	.set _ZL20rocblas_tpmvn_kernelILi512EPKPK19rocblas_complex_numIdEPKPS1_S6_EvbbiT0_llT1_lllT2_li.uses_flat_scratch, 0
	.set _ZL20rocblas_tpmvn_kernelILi512EPKPK19rocblas_complex_numIdEPKPS1_S6_EvbbiT0_llT1_lllT2_li.has_dyn_sized_stack, 0
	.set _ZL20rocblas_tpmvn_kernelILi512EPKPK19rocblas_complex_numIdEPKPS1_S6_EvbbiT0_llT1_lllT2_li.has_recursion, 0
	.set _ZL20rocblas_tpmvn_kernelILi512EPKPK19rocblas_complex_numIdEPKPS1_S6_EvbbiT0_llT1_lllT2_li.has_indirect_call, 0
	.section	.AMDGPU.csdata,"",@progbits
; Kernel info:
; codeLenInByte = 1080
; TotalNumSgprs: 46
; NumVgprs: 42
; ScratchSize: 0
; MemoryBound: 0
; FloatMode: 240
; IeeeMode: 1
; LDSByteSize: 0 bytes/workgroup (compile time only)
; SGPRBlocks: 0
; VGPRBlocks: 2
; NumSGPRsForWavesPerEU: 46
; NumVGPRsForWavesPerEU: 42
; NamedBarCnt: 0
; Occupancy: 16
; WaveLimiterHint : 1
; COMPUTE_PGM_RSRC2:SCRATCH_EN: 0
; COMPUTE_PGM_RSRC2:USER_SGPR: 2
; COMPUTE_PGM_RSRC2:TRAP_HANDLER: 0
; COMPUTE_PGM_RSRC2:TGID_X_EN: 1
; COMPUTE_PGM_RSRC2:TGID_Y_EN: 0
; COMPUTE_PGM_RSRC2:TGID_Z_EN: 1
; COMPUTE_PGM_RSRC2:TIDIG_COMP_CNT: 0
	.section	.text._ZL20rocblas_tpmvt_kernelILi512EPKPK19rocblas_complex_numIdEPKPS1_S6_EvbbiT0_llT1_lllT2_li,"axG",@progbits,_ZL20rocblas_tpmvt_kernelILi512EPKPK19rocblas_complex_numIdEPKPS1_S6_EvbbiT0_llT1_lllT2_li,comdat
	.globl	_ZL20rocblas_tpmvt_kernelILi512EPKPK19rocblas_complex_numIdEPKPS1_S6_EvbbiT0_llT1_lllT2_li ; -- Begin function _ZL20rocblas_tpmvt_kernelILi512EPKPK19rocblas_complex_numIdEPKPS1_S6_EvbbiT0_llT1_lllT2_li
	.p2align	8
	.type	_ZL20rocblas_tpmvt_kernelILi512EPKPK19rocblas_complex_numIdEPKPS1_S6_EvbbiT0_llT1_lllT2_li,@function
_ZL20rocblas_tpmvt_kernelILi512EPKPK19rocblas_complex_numIdEPKPS1_S6_EvbbiT0_llT1_lllT2_li: ; @_ZL20rocblas_tpmvt_kernelILi512EPKPK19rocblas_complex_numIdEPKPS1_S6_EvbbiT0_llT1_lllT2_li
; %bb.0:
	s_load_b32 s28, s[0:1], 0x50
	s_bfe_u32 s2, ttmp6, 0x40014
	s_lshr_b32 s3, ttmp7, 16
	s_add_co_i32 s2, s2, 1
	s_bfe_u32 s5, ttmp6, 0x40008
	s_mul_i32 s4, s3, s2
	s_getreg_b32 s2, hwreg(HW_REG_IB_STS2, 6, 4)
	s_add_co_i32 s5, s5, s4
	s_cmp_eq_u32 s2, 0
	s_mov_b32 s17, 0
	s_cselect_b32 s16, s3, s5
	s_wait_kmcnt 0x0
	s_cmp_ge_u32 s16, s28
	s_cbranch_scc1 .LBB22_21
; %bb.1:
	s_clause 0x4
	s_load_b32 s3, s[0:1], 0x0
	s_load_b64 s[18:19], s[0:1], 0x0
	s_load_b32 s4, s[0:1], 0x64
	s_load_b64 s[20:21], s[0:1], 0x30
	s_load_b128 s[8:11], s[0:1], 0x20
	s_wait_kmcnt 0x0
	s_bitcmp1_b32 s3, 0
	s_cselect_b32 s3, -1, 0
	s_delay_alu instid0(SALU_CYCLE_1)
	s_xor_b32 s29, s3, -1
	s_bitcmp1_b32 s18, 8
	s_cselect_b32 s3, -1, 0
	s_bfe_u32 s5, ttmp6, 0x4000c
	s_and_b32 s6, ttmp6, 15
	s_add_co_i32 s5, s5, 1
	s_and_b32 s4, s4, 0xffff
	s_mul_i32 s5, ttmp9, s5
	s_xor_b32 s18, s3, -1
	s_add_co_i32 s6, s6, s5
	s_cmp_eq_u32 s2, 0
	s_cselect_b32 s2, ttmp9, s6
	s_ashr_i32 s3, s19, 31
	v_mad_u32 v8, s2, s4, v0
	s_mov_b32 s2, s19
	s_load_b128 s[4:7], s[0:1], 0x8
	s_lshl_b64 s[12:13], s[2:3], 4
	s_lshl_b64 s[10:11], s[10:11], 4
	s_add_nc_u64 s[22:23], s[12:13], -16
	s_load_b128 s[12:15], s[0:1], 0x40
	s_delay_alu instid0(VALU_DEP_1)
	v_dual_ashrrev_i32 v9, 31, v8 :: v_dual_add_nc_u32 v10, 1, v8
	v_mov_b32_e32 v13, 0
	s_wait_xcnt 0x0
	v_cmp_gt_i32_e64 s0, s19, v8
	v_cmp_lt_i32_e64 s1, 0, v8
	v_add_nc_u64_e32 v[0:1], -1, v[8:9]
	v_dual_mov_b32 v12, v10 :: v_dual_ashrrev_i32 v11, 31, v10
	v_mul_u64_e32 v[26:27], s[2:3], v[8:9]
	v_mul_u64_e32 v[14:15], s[20:21], v[8:9]
	v_cmp_gt_i32_e64 s2, s19, v10
	s_delay_alu instid0(VALU_DEP_4)
	v_mul_u64_e32 v[6:7], s[20:21], v[10:11]
	v_mul_u64_e32 v[0:1], v[0:1], v[8:9]
	;; [unrolled: 1-line block ×3, first 2 shown]
	s_wait_kmcnt 0x0
	s_lshl_b64 s[6:7], s[6:7], 4
	v_lshl_add_u64 v[22:23], v[8:9], 4, s[12:13]
	v_mad_nc_u64_u32 v[4:5], s22, v8, s[6:7]
	s_lshl_b64 s[12:13], s[20:21], 4
	s_or_b32 s20, s10, 8
	s_mov_b32 s21, s11
	s_delay_alu instid0(VALU_DEP_1) | instskip(NEXT) | instid1(VALU_DEP_1)
	v_mad_u32 v5, s23, v8, v5
	v_mad_u32 v5, s22, v9, v5
	v_lshl_add_u64 v[16:17], v[6:7], 4, s[10:11]
	v_lshrrev_b64 v[0:1], 1, v[0:1]
	v_lshlrev_b64_e32 v[2:3], 3, v[2:3]
	s_delay_alu instid0(VALU_DEP_3)
	v_or_b32_e32 v16, 8, v16
	v_mul_u64_e32 v[24:25], v[10:11], v[8:9]
	v_lshl_add_u64 v[4:5], v[10:11], 4, v[4:5]
	v_lshlrev_b64_e32 v[20:21], 4, v[0:1]
	v_and_b32_e32 v2, -16, v2
	v_sub_nc_u64_e32 v[26:27], v[26:27], v[0:1]
	v_cndmask_b32_e64 v11, 0, 1, s18
	s_delay_alu instid0(VALU_DEP_3) | instskip(SKIP_1) | instid1(VALU_DEP_2)
	v_add_nc_u64_e32 v[18:19], s[6:7], v[2:3]
	v_sub_nc_u64_e32 v[20:21], v[4:5], v[20:21]
	v_or_b32_e32 v18, 8, v18
	s_delay_alu instid0(VALU_DEP_2)
	v_or_b32_e32 v20, 8, v20
	v_lshrrev_b64 v[24:25], 1, v[24:25]
	s_branch .LBB22_5
.LBB22_2:                               ;   in Loop: Header=BB22_5 Depth=1
	s_or_b32 exec_lo, exec_lo, s3
	s_wait_loadcnt_dscnt 0x0
	s_delay_alu instid0(VALU_DEP_1) | instskip(NEXT) | instid1(VALU_DEP_3)
	v_mov_b64_e32 v[6:7], v[2:3]
	v_mov_b64_e32 v[4:5], v[0:1]
.LBB22_3:                               ;   in Loop: Header=BB22_5 Depth=1
	s_mul_u64 s[22:23], s[14:15], s[16:17]
	s_wait_loadcnt_dscnt 0x0
	s_wait_xcnt 0x0
	v_lshl_add_u64 v[0:1], s[22:23], 4, v[22:23]
	global_store_b128 v[0:1], v[4:7], off
.LBB22_4:                               ;   in Loop: Header=BB22_5 Depth=1
	s_wait_xcnt 0x0
	s_or_b32 exec_lo, exec_lo, s30
	s_add_co_i32 s16, s16, 0x10000
	s_delay_alu instid0(SALU_CYCLE_1)
	s_cmp_lt_u32 s16, s28
	s_cbranch_scc0 .LBB22_21
.LBB22_5:                               ; =>This Loop Header: Depth=1
                                        ;     Child Loop BB22_11 Depth 2
                                        ;     Child Loop BB22_19 Depth 2
	s_and_saveexec_b32 s30, s0
	s_cbranch_execz .LBB22_4
; %bb.6:                                ;   in Loop: Header=BB22_5 Depth=1
	s_load_b64 s[22:23], s[8:9], s16 offset:0x0 scale_offset
	v_cmp_ne_u32_e64 s3, 1, v11
	s_and_b32 vcc_lo, exec_lo, s29
	s_mov_b32 s31, -1
                                        ; implicit-def: $vgpr6_vgpr7
	s_wait_kmcnt 0x0
	s_add_nc_u64 s[24:25], s[22:23], s[10:11]
	s_delay_alu instid0(SALU_CYCLE_1)
	v_lshl_add_u64 v[0:1], v[14:15], 4, s[24:25]
	s_load_b64 s[24:25], s[4:5], s16 offset:0x0 scale_offset
	flat_load_b128 v[0:3], v[0:1]
	s_wait_kmcnt 0x0
	s_add_nc_u64 s[26:27], s[24:25], s[6:7]
	s_cbranch_vccz .LBB22_14
; %bb.7:                                ;   in Loop: Header=BB22_5 Depth=1
	s_wait_loadcnt_dscnt 0x0
	v_mov_b64_e32 v[4:5], v[0:1]
	v_mov_b64_e32 v[6:7], v[2:3]
	s_and_b32 vcc_lo, exec_lo, s3
	s_cbranch_vccnz .LBB22_9
; %bb.8:                                ;   in Loop: Header=BB22_5 Depth=1
	v_lshl_add_u64 v[4:5], v[26:27], 4, s[26:27]
	flat_load_b128 v[28:31], v[4:5]
	s_wait_loadcnt_dscnt 0x0
	s_wait_xcnt 0x0
	v_mul_f64_e32 v[4:5], v[2:3], v[30:31]
	v_mul_f64_e32 v[6:7], v[0:1], v[30:31]
	s_delay_alu instid0(VALU_DEP_2) | instskip(NEXT) | instid1(VALU_DEP_2)
	v_fma_f64 v[4:5], v[0:1], v[28:29], -v[4:5]
	v_fmac_f64_e32 v[6:7], v[2:3], v[28:29]
.LBB22_9:                               ;   in Loop: Header=BB22_5 Depth=1
	s_wait_xcnt 0x0
	s_and_saveexec_b32 s3, s2
	s_cbranch_execz .LBB22_13
; %bb.10:                               ;   in Loop: Header=BB22_5 Depth=1
	v_add_nc_u64_e32 v[28:29], s[24:25], v[20:21]
	v_add_nc_u64_e32 v[30:31], s[22:23], v[16:17]
	v_mov_b32_e32 v12, v10
	s_mov_b32 s31, 0
.LBB22_11:                              ;   Parent Loop BB22_5 Depth=1
                                        ; =>  This Inner Loop Header: Depth=2
	flat_load_b128 v[32:35], v[30:31] offset:-8
	flat_load_b128 v[36:39], v[28:29] offset:-8
	s_wait_xcnt 0x0
	v_add_nc_u64_e32 v[28:29], 16, v[28:29]
	v_add_nc_u64_e32 v[30:31], s[12:13], v[30:31]
	v_add_nc_u32_e32 v12, 1, v12
	s_delay_alu instid0(VALU_DEP_1) | instskip(SKIP_4) | instid1(VALU_DEP_2)
	v_cmp_le_i32_e32 vcc_lo, s19, v12
	s_or_b32 s31, vcc_lo, s31
	s_wait_loadcnt_dscnt 0x0
	v_mul_f64_e32 v[40:41], v[34:35], v[38:39]
	v_mul_f64_e32 v[38:39], v[32:33], v[38:39]
	v_fma_f64 v[32:33], v[32:33], v[36:37], -v[40:41]
	s_delay_alu instid0(VALU_DEP_2) | instskip(NEXT) | instid1(VALU_DEP_2)
	v_fmac_f64_e32 v[38:39], v[34:35], v[36:37]
	v_add_f64_e32 v[4:5], v[4:5], v[32:33]
	s_delay_alu instid0(VALU_DEP_2)
	v_add_f64_e32 v[6:7], v[6:7], v[38:39]
	s_and_not1_b32 exec_lo, exec_lo, s31
	s_cbranch_execnz .LBB22_11
; %bb.12:                               ;   in Loop: Header=BB22_5 Depth=1
	s_or_b32 exec_lo, exec_lo, s31
.LBB22_13:                              ;   in Loop: Header=BB22_5 Depth=1
	s_delay_alu instid0(SALU_CYCLE_1)
	s_or_b32 exec_lo, exec_lo, s3
	s_mov_b32 s31, 0
.LBB22_14:                              ;   in Loop: Header=BB22_5 Depth=1
	s_delay_alu instid0(SALU_CYCLE_1)
	s_and_b32 vcc_lo, exec_lo, s31
	s_cbranch_vccz .LBB22_3
; %bb.15:                               ;   in Loop: Header=BB22_5 Depth=1
	s_and_not1_b32 vcc_lo, exec_lo, s18
	s_cbranch_vccnz .LBB22_17
; %bb.16:                               ;   in Loop: Header=BB22_5 Depth=1
	v_lshl_add_u64 v[4:5], v[24:25], 4, s[26:27]
	s_delay_alu instid0(VALU_DEP_1)
	v_lshl_add_u64 v[4:5], v[8:9], 4, v[4:5]
	flat_load_b128 v[4:7], v[4:5]
	s_wait_loadcnt_dscnt 0x0
	v_mul_f64_e32 v[28:29], v[2:3], v[6:7]
	v_mul_f64_e32 v[6:7], v[0:1], v[6:7]
	s_wait_xcnt 0x1
	s_delay_alu instid0(VALU_DEP_2) | instskip(NEXT) | instid1(VALU_DEP_2)
	v_fma_f64 v[0:1], v[0:1], v[4:5], -v[28:29]
	v_fmac_f64_e32 v[6:7], v[2:3], v[4:5]
	s_delay_alu instid0(VALU_DEP_1)
	v_mov_b64_e32 v[2:3], v[6:7]
.LBB22_17:                              ;   in Loop: Header=BB22_5 Depth=1
	s_wait_xcnt 0x0
	s_and_saveexec_b32 s3, s1
	s_cbranch_execz .LBB22_2
; %bb.18:                               ;   in Loop: Header=BB22_5 Depth=1
	v_add_nc_u64_e32 v[4:5], s[24:25], v[18:19]
	v_mov_b32_e32 v6, v8
	s_add_nc_u64 s[22:23], s[22:23], s[20:21]
	s_mov_b32 s24, 0
.LBB22_19:                              ;   Parent Loop BB22_5 Depth=1
                                        ; =>  This Inner Loop Header: Depth=2
	flat_load_b128 v[28:31], v13, s[22:23] offset:-8
	flat_load_b128 v[32:35], v[4:5] offset:-8
	s_wait_xcnt 0x0
	v_add_nc_u64_e32 v[4:5], 16, v[4:5]
	s_add_nc_u64 s[22:23], s[22:23], s[12:13]
	v_add_nc_u32_e32 v6, -1, v6
	s_delay_alu instid0(VALU_DEP_1) | instskip(SKIP_4) | instid1(VALU_DEP_2)
	v_cmp_eq_u32_e32 vcc_lo, 0, v6
	s_or_b32 s24, vcc_lo, s24
	s_wait_loadcnt_dscnt 0x0
	v_mul_f64_e32 v[36:37], v[30:31], v[34:35]
	v_mul_f64_e32 v[34:35], v[28:29], v[34:35]
	v_fma_f64 v[28:29], v[28:29], v[32:33], -v[36:37]
	s_delay_alu instid0(VALU_DEP_2) | instskip(NEXT) | instid1(VALU_DEP_2)
	v_fmac_f64_e32 v[34:35], v[30:31], v[32:33]
	v_add_f64_e32 v[0:1], v[0:1], v[28:29]
	s_delay_alu instid0(VALU_DEP_2)
	v_add_f64_e32 v[2:3], v[2:3], v[34:35]
	s_and_not1_b32 exec_lo, exec_lo, s24
	s_cbranch_execnz .LBB22_19
; %bb.20:                               ;   in Loop: Header=BB22_5 Depth=1
	s_or_b32 exec_lo, exec_lo, s24
	s_branch .LBB22_2
.LBB22_21:
	s_endpgm
	.section	.rodata,"a",@progbits
	.p2align	6, 0x0
	.amdhsa_kernel _ZL20rocblas_tpmvt_kernelILi512EPKPK19rocblas_complex_numIdEPKPS1_S6_EvbbiT0_llT1_lllT2_li
		.amdhsa_group_segment_fixed_size 0
		.amdhsa_private_segment_fixed_size 0
		.amdhsa_kernarg_size 344
		.amdhsa_user_sgpr_count 2
		.amdhsa_user_sgpr_dispatch_ptr 0
		.amdhsa_user_sgpr_queue_ptr 0
		.amdhsa_user_sgpr_kernarg_segment_ptr 1
		.amdhsa_user_sgpr_dispatch_id 0
		.amdhsa_user_sgpr_kernarg_preload_length 0
		.amdhsa_user_sgpr_kernarg_preload_offset 0
		.amdhsa_user_sgpr_private_segment_size 0
		.amdhsa_wavefront_size32 1
		.amdhsa_uses_dynamic_stack 0
		.amdhsa_enable_private_segment 0
		.amdhsa_system_sgpr_workgroup_id_x 1
		.amdhsa_system_sgpr_workgroup_id_y 0
		.amdhsa_system_sgpr_workgroup_id_z 1
		.amdhsa_system_sgpr_workgroup_info 0
		.amdhsa_system_vgpr_workitem_id 0
		.amdhsa_next_free_vgpr 42
		.amdhsa_next_free_sgpr 32
		.amdhsa_named_barrier_count 0
		.amdhsa_reserve_vcc 1
		.amdhsa_float_round_mode_32 0
		.amdhsa_float_round_mode_16_64 0
		.amdhsa_float_denorm_mode_32 3
		.amdhsa_float_denorm_mode_16_64 3
		.amdhsa_fp16_overflow 0
		.amdhsa_memory_ordered 1
		.amdhsa_forward_progress 1
		.amdhsa_inst_pref_size 9
		.amdhsa_round_robin_scheduling 0
		.amdhsa_exception_fp_ieee_invalid_op 0
		.amdhsa_exception_fp_denorm_src 0
		.amdhsa_exception_fp_ieee_div_zero 0
		.amdhsa_exception_fp_ieee_overflow 0
		.amdhsa_exception_fp_ieee_underflow 0
		.amdhsa_exception_fp_ieee_inexact 0
		.amdhsa_exception_int_div_zero 0
	.end_amdhsa_kernel
	.section	.text._ZL20rocblas_tpmvt_kernelILi512EPKPK19rocblas_complex_numIdEPKPS1_S6_EvbbiT0_llT1_lllT2_li,"axG",@progbits,_ZL20rocblas_tpmvt_kernelILi512EPKPK19rocblas_complex_numIdEPKPS1_S6_EvbbiT0_llT1_lllT2_li,comdat
.Lfunc_end22:
	.size	_ZL20rocblas_tpmvt_kernelILi512EPKPK19rocblas_complex_numIdEPKPS1_S6_EvbbiT0_llT1_lllT2_li, .Lfunc_end22-_ZL20rocblas_tpmvt_kernelILi512EPKPK19rocblas_complex_numIdEPKPS1_S6_EvbbiT0_llT1_lllT2_li
                                        ; -- End function
	.set _ZL20rocblas_tpmvt_kernelILi512EPKPK19rocblas_complex_numIdEPKPS1_S6_EvbbiT0_llT1_lllT2_li.num_vgpr, 42
	.set _ZL20rocblas_tpmvt_kernelILi512EPKPK19rocblas_complex_numIdEPKPS1_S6_EvbbiT0_llT1_lllT2_li.num_agpr, 0
	.set _ZL20rocblas_tpmvt_kernelILi512EPKPK19rocblas_complex_numIdEPKPS1_S6_EvbbiT0_llT1_lllT2_li.numbered_sgpr, 32
	.set _ZL20rocblas_tpmvt_kernelILi512EPKPK19rocblas_complex_numIdEPKPS1_S6_EvbbiT0_llT1_lllT2_li.num_named_barrier, 0
	.set _ZL20rocblas_tpmvt_kernelILi512EPKPK19rocblas_complex_numIdEPKPS1_S6_EvbbiT0_llT1_lllT2_li.private_seg_size, 0
	.set _ZL20rocblas_tpmvt_kernelILi512EPKPK19rocblas_complex_numIdEPKPS1_S6_EvbbiT0_llT1_lllT2_li.uses_vcc, 1
	.set _ZL20rocblas_tpmvt_kernelILi512EPKPK19rocblas_complex_numIdEPKPS1_S6_EvbbiT0_llT1_lllT2_li.uses_flat_scratch, 0
	.set _ZL20rocblas_tpmvt_kernelILi512EPKPK19rocblas_complex_numIdEPKPS1_S6_EvbbiT0_llT1_lllT2_li.has_dyn_sized_stack, 0
	.set _ZL20rocblas_tpmvt_kernelILi512EPKPK19rocblas_complex_numIdEPKPS1_S6_EvbbiT0_llT1_lllT2_li.has_recursion, 0
	.set _ZL20rocblas_tpmvt_kernelILi512EPKPK19rocblas_complex_numIdEPKPS1_S6_EvbbiT0_llT1_lllT2_li.has_indirect_call, 0
	.section	.AMDGPU.csdata,"",@progbits
; Kernel info:
; codeLenInByte = 1076
; TotalNumSgprs: 34
; NumVgprs: 42
; ScratchSize: 0
; MemoryBound: 0
; FloatMode: 240
; IeeeMode: 1
; LDSByteSize: 0 bytes/workgroup (compile time only)
; SGPRBlocks: 0
; VGPRBlocks: 2
; NumSGPRsForWavesPerEU: 34
; NumVGPRsForWavesPerEU: 42
; NamedBarCnt: 0
; Occupancy: 16
; WaveLimiterHint : 1
; COMPUTE_PGM_RSRC2:SCRATCH_EN: 0
; COMPUTE_PGM_RSRC2:USER_SGPR: 2
; COMPUTE_PGM_RSRC2:TRAP_HANDLER: 0
; COMPUTE_PGM_RSRC2:TGID_X_EN: 1
; COMPUTE_PGM_RSRC2:TGID_Y_EN: 0
; COMPUTE_PGM_RSRC2:TGID_Z_EN: 1
; COMPUTE_PGM_RSRC2:TIDIG_COMP_CNT: 0
	.section	.text._ZL20rocblas_tpmvc_kernelILi512EPKPK19rocblas_complex_numIdEPKPS1_S6_EvbbiT0_llT1_lllT2_li,"axG",@progbits,_ZL20rocblas_tpmvc_kernelILi512EPKPK19rocblas_complex_numIdEPKPS1_S6_EvbbiT0_llT1_lllT2_li,comdat
	.globl	_ZL20rocblas_tpmvc_kernelILi512EPKPK19rocblas_complex_numIdEPKPS1_S6_EvbbiT0_llT1_lllT2_li ; -- Begin function _ZL20rocblas_tpmvc_kernelILi512EPKPK19rocblas_complex_numIdEPKPS1_S6_EvbbiT0_llT1_lllT2_li
	.p2align	8
	.type	_ZL20rocblas_tpmvc_kernelILi512EPKPK19rocblas_complex_numIdEPKPS1_S6_EvbbiT0_llT1_lllT2_li,@function
_ZL20rocblas_tpmvc_kernelILi512EPKPK19rocblas_complex_numIdEPKPS1_S6_EvbbiT0_llT1_lllT2_li: ; @_ZL20rocblas_tpmvc_kernelILi512EPKPK19rocblas_complex_numIdEPKPS1_S6_EvbbiT0_llT1_lllT2_li
; %bb.0:
	s_load_b32 s28, s[0:1], 0x50
	s_bfe_u32 s2, ttmp6, 0x40014
	s_lshr_b32 s3, ttmp7, 16
	s_add_co_i32 s2, s2, 1
	s_bfe_u32 s5, ttmp6, 0x40008
	s_mul_i32 s4, s3, s2
	s_getreg_b32 s2, hwreg(HW_REG_IB_STS2, 6, 4)
	s_add_co_i32 s5, s5, s4
	s_cmp_eq_u32 s2, 0
	s_mov_b32 s17, 0
	s_cselect_b32 s16, s3, s5
	s_wait_kmcnt 0x0
	s_cmp_ge_u32 s16, s28
	s_cbranch_scc1 .LBB23_21
; %bb.1:
	s_clause 0x4
	s_load_b32 s3, s[0:1], 0x0
	s_load_b64 s[18:19], s[0:1], 0x0
	s_load_b32 s4, s[0:1], 0x64
	s_load_b64 s[20:21], s[0:1], 0x30
	s_load_b128 s[8:11], s[0:1], 0x20
	s_wait_kmcnt 0x0
	s_bitcmp1_b32 s3, 0
	s_cselect_b32 s3, -1, 0
	s_delay_alu instid0(SALU_CYCLE_1)
	s_xor_b32 s29, s3, -1
	s_bitcmp1_b32 s18, 8
	s_cselect_b32 s3, -1, 0
	s_bfe_u32 s5, ttmp6, 0x4000c
	s_and_b32 s6, ttmp6, 15
	s_add_co_i32 s5, s5, 1
	s_and_b32 s4, s4, 0xffff
	s_mul_i32 s5, ttmp9, s5
	s_xor_b32 s18, s3, -1
	s_add_co_i32 s6, s6, s5
	s_cmp_eq_u32 s2, 0
	s_cselect_b32 s2, ttmp9, s6
	s_ashr_i32 s3, s19, 31
	v_mad_u32 v8, s2, s4, v0
	s_mov_b32 s2, s19
	s_load_b128 s[4:7], s[0:1], 0x8
	s_lshl_b64 s[12:13], s[2:3], 4
	s_lshl_b64 s[10:11], s[10:11], 4
	s_add_nc_u64 s[22:23], s[12:13], -16
	s_load_b128 s[12:15], s[0:1], 0x40
	s_delay_alu instid0(VALU_DEP_1)
	v_dual_ashrrev_i32 v9, 31, v8 :: v_dual_add_nc_u32 v10, 1, v8
	v_mov_b32_e32 v13, 0
	s_wait_xcnt 0x0
	v_cmp_gt_i32_e64 s0, s19, v8
	v_cmp_lt_i32_e64 s1, 0, v8
	v_add_nc_u64_e32 v[0:1], -1, v[8:9]
	v_dual_mov_b32 v12, v10 :: v_dual_ashrrev_i32 v11, 31, v10
	v_mul_u64_e32 v[26:27], s[2:3], v[8:9]
	v_mul_u64_e32 v[14:15], s[20:21], v[8:9]
	v_cmp_gt_i32_e64 s2, s19, v10
	s_delay_alu instid0(VALU_DEP_4)
	v_mul_u64_e32 v[6:7], s[20:21], v[10:11]
	v_mul_u64_e32 v[0:1], v[0:1], v[8:9]
	v_mul_u64_e32 v[2:3], v[12:13], v[8:9]
	s_wait_kmcnt 0x0
	s_lshl_b64 s[6:7], s[6:7], 4
	v_lshl_add_u64 v[22:23], v[8:9], 4, s[12:13]
	v_mad_nc_u64_u32 v[4:5], s22, v8, s[6:7]
	s_lshl_b64 s[12:13], s[20:21], 4
	s_or_b32 s20, s10, 8
	s_mov_b32 s21, s11
	s_delay_alu instid0(VALU_DEP_1) | instskip(NEXT) | instid1(VALU_DEP_1)
	v_mad_u32 v5, s23, v8, v5
	v_mad_u32 v5, s22, v9, v5
	v_lshl_add_u64 v[16:17], v[6:7], 4, s[10:11]
	v_lshrrev_b64 v[0:1], 1, v[0:1]
	v_lshlrev_b64_e32 v[2:3], 3, v[2:3]
	s_delay_alu instid0(VALU_DEP_3)
	v_or_b32_e32 v16, 8, v16
	v_mul_u64_e32 v[24:25], v[10:11], v[8:9]
	v_lshl_add_u64 v[4:5], v[10:11], 4, v[4:5]
	v_lshlrev_b64_e32 v[20:21], 4, v[0:1]
	v_and_b32_e32 v2, -16, v2
	v_sub_nc_u64_e32 v[26:27], v[26:27], v[0:1]
	v_cndmask_b32_e64 v11, 0, 1, s18
	s_delay_alu instid0(VALU_DEP_3) | instskip(SKIP_1) | instid1(VALU_DEP_2)
	v_add_nc_u64_e32 v[18:19], s[6:7], v[2:3]
	v_sub_nc_u64_e32 v[20:21], v[4:5], v[20:21]
	v_or_b32_e32 v18, 8, v18
	s_delay_alu instid0(VALU_DEP_2)
	v_or_b32_e32 v20, 8, v20
	v_lshrrev_b64 v[24:25], 1, v[24:25]
	s_branch .LBB23_5
.LBB23_2:                               ;   in Loop: Header=BB23_5 Depth=1
	s_or_b32 exec_lo, exec_lo, s3
	s_wait_loadcnt_dscnt 0x0
	s_delay_alu instid0(VALU_DEP_1) | instskip(NEXT) | instid1(VALU_DEP_2)
	v_mov_b64_e32 v[6:7], v[2:3]
	v_mov_b64_e32 v[4:5], v[0:1]
.LBB23_3:                               ;   in Loop: Header=BB23_5 Depth=1
	s_mul_u64 s[22:23], s[14:15], s[16:17]
	s_wait_loadcnt_dscnt 0x0
	s_wait_xcnt 0x0
	v_lshl_add_u64 v[0:1], s[22:23], 4, v[22:23]
	global_store_b128 v[0:1], v[4:7], off
.LBB23_4:                               ;   in Loop: Header=BB23_5 Depth=1
	s_wait_xcnt 0x0
	s_or_b32 exec_lo, exec_lo, s30
	s_add_co_i32 s16, s16, 0x10000
	s_delay_alu instid0(SALU_CYCLE_1)
	s_cmp_lt_u32 s16, s28
	s_cbranch_scc0 .LBB23_21
.LBB23_5:                               ; =>This Loop Header: Depth=1
                                        ;     Child Loop BB23_11 Depth 2
                                        ;     Child Loop BB23_19 Depth 2
	s_and_saveexec_b32 s30, s0
	s_cbranch_execz .LBB23_4
; %bb.6:                                ;   in Loop: Header=BB23_5 Depth=1
	s_load_b64 s[22:23], s[8:9], s16 offset:0x0 scale_offset
	v_cmp_ne_u32_e64 s3, 1, v11
	s_and_b32 vcc_lo, exec_lo, s29
	s_mov_b32 s31, -1
                                        ; implicit-def: $vgpr6_vgpr7
	s_wait_kmcnt 0x0
	s_add_nc_u64 s[24:25], s[22:23], s[10:11]
	s_delay_alu instid0(SALU_CYCLE_1)
	v_lshl_add_u64 v[0:1], v[14:15], 4, s[24:25]
	s_load_b64 s[24:25], s[4:5], s16 offset:0x0 scale_offset
	flat_load_b128 v[0:3], v[0:1]
	s_wait_kmcnt 0x0
	s_add_nc_u64 s[26:27], s[24:25], s[6:7]
	s_cbranch_vccz .LBB23_14
; %bb.7:                                ;   in Loop: Header=BB23_5 Depth=1
	s_wait_loadcnt_dscnt 0x0
	v_mov_b64_e32 v[4:5], v[0:1]
	v_mov_b64_e32 v[6:7], v[2:3]
	s_and_b32 vcc_lo, exec_lo, s3
	s_cbranch_vccnz .LBB23_9
; %bb.8:                                ;   in Loop: Header=BB23_5 Depth=1
	v_lshl_add_u64 v[4:5], v[26:27], 4, s[26:27]
	flat_load_b128 v[28:31], v[4:5]
	s_wait_loadcnt_dscnt 0x0
	s_wait_xcnt 0x0
	v_mul_f64_e32 v[4:5], v[2:3], v[30:31]
	v_mul_f64_e32 v[6:7], v[0:1], v[30:31]
	s_delay_alu instid0(VALU_DEP_2) | instskip(NEXT) | instid1(VALU_DEP_2)
	v_fmac_f64_e32 v[4:5], v[0:1], v[28:29]
	v_fma_f64 v[6:7], v[2:3], v[28:29], -v[6:7]
.LBB23_9:                               ;   in Loop: Header=BB23_5 Depth=1
	s_wait_xcnt 0x0
	s_and_saveexec_b32 s3, s2
	s_cbranch_execz .LBB23_13
; %bb.10:                               ;   in Loop: Header=BB23_5 Depth=1
	v_add_nc_u64_e32 v[28:29], s[24:25], v[20:21]
	v_add_nc_u64_e32 v[30:31], s[22:23], v[16:17]
	v_mov_b32_e32 v12, v10
	s_mov_b32 s31, 0
.LBB23_11:                              ;   Parent Loop BB23_5 Depth=1
                                        ; =>  This Inner Loop Header: Depth=2
	flat_load_b128 v[32:35], v[28:29] offset:-8
	flat_load_b128 v[36:39], v[30:31] offset:-8
	s_wait_xcnt 0x1
	v_add_nc_u64_e32 v[28:29], 16, v[28:29]
	s_wait_xcnt 0x0
	v_add_nc_u64_e32 v[30:31], s[12:13], v[30:31]
	v_add_nc_u32_e32 v12, 1, v12
	s_delay_alu instid0(VALU_DEP_1) | instskip(SKIP_4) | instid1(VALU_DEP_2)
	v_cmp_le_i32_e32 vcc_lo, s19, v12
	s_or_b32 s31, vcc_lo, s31
	s_wait_loadcnt_dscnt 0x0
	v_mul_f64_e32 v[40:41], v[34:35], v[38:39]
	v_mul_f64_e32 v[34:35], v[34:35], v[36:37]
	v_fmac_f64_e32 v[40:41], v[32:33], v[36:37]
	s_delay_alu instid0(VALU_DEP_2) | instskip(NEXT) | instid1(VALU_DEP_2)
	v_fma_f64 v[32:33], v[32:33], v[38:39], -v[34:35]
	v_add_f64_e32 v[4:5], v[4:5], v[40:41]
	s_delay_alu instid0(VALU_DEP_2)
	v_add_f64_e32 v[6:7], v[6:7], v[32:33]
	s_and_not1_b32 exec_lo, exec_lo, s31
	s_cbranch_execnz .LBB23_11
; %bb.12:                               ;   in Loop: Header=BB23_5 Depth=1
	s_or_b32 exec_lo, exec_lo, s31
.LBB23_13:                              ;   in Loop: Header=BB23_5 Depth=1
	s_delay_alu instid0(SALU_CYCLE_1)
	s_or_b32 exec_lo, exec_lo, s3
	s_mov_b32 s31, 0
.LBB23_14:                              ;   in Loop: Header=BB23_5 Depth=1
	s_delay_alu instid0(SALU_CYCLE_1)
	s_and_b32 vcc_lo, exec_lo, s31
	s_cbranch_vccz .LBB23_3
; %bb.15:                               ;   in Loop: Header=BB23_5 Depth=1
	s_and_not1_b32 vcc_lo, exec_lo, s18
	s_cbranch_vccnz .LBB23_17
; %bb.16:                               ;   in Loop: Header=BB23_5 Depth=1
	v_lshl_add_u64 v[4:5], v[24:25], 4, s[26:27]
	s_delay_alu instid0(VALU_DEP_1) | instskip(SKIP_4) | instid1(VALU_DEP_2)
	v_lshl_add_u64 v[4:5], v[8:9], 4, v[4:5]
	flat_load_b128 v[4:7], v[4:5]
	s_wait_loadcnt_dscnt 0x0
	v_mul_f64_e32 v[28:29], v[2:3], v[6:7]
	v_mul_f64_e32 v[6:7], v[0:1], v[6:7]
	v_fmac_f64_e32 v[28:29], v[0:1], v[4:5]
	s_delay_alu instid0(VALU_DEP_2) | instskip(SKIP_1) | instid1(VALU_DEP_2)
	v_fma_f64 v[2:3], v[2:3], v[4:5], -v[6:7]
	s_wait_xcnt 0x1
	v_mov_b64_e32 v[0:1], v[28:29]
.LBB23_17:                              ;   in Loop: Header=BB23_5 Depth=1
	s_wait_xcnt 0x0
	s_and_saveexec_b32 s3, s1
	s_cbranch_execz .LBB23_2
; %bb.18:                               ;   in Loop: Header=BB23_5 Depth=1
	v_add_nc_u64_e32 v[4:5], s[24:25], v[18:19]
	v_mov_b32_e32 v6, v8
	s_add_nc_u64 s[22:23], s[22:23], s[20:21]
	s_mov_b32 s24, 0
.LBB23_19:                              ;   Parent Loop BB23_5 Depth=1
                                        ; =>  This Inner Loop Header: Depth=2
	flat_load_b128 v[28:31], v[4:5] offset:-8
	flat_load_b128 v[32:35], v13, s[22:23] offset:-8
	s_wait_xcnt 0x1
	v_add_nc_u64_e32 v[4:5], 16, v[4:5]
	s_wait_xcnt 0x0
	s_add_nc_u64 s[22:23], s[22:23], s[12:13]
	v_add_nc_u32_e32 v6, -1, v6
	s_delay_alu instid0(VALU_DEP_1) | instskip(SKIP_4) | instid1(VALU_DEP_2)
	v_cmp_eq_u32_e32 vcc_lo, 0, v6
	s_or_b32 s24, vcc_lo, s24
	s_wait_loadcnt_dscnt 0x0
	v_mul_f64_e32 v[36:37], v[30:31], v[34:35]
	v_mul_f64_e32 v[30:31], v[30:31], v[32:33]
	v_fmac_f64_e32 v[36:37], v[28:29], v[32:33]
	s_delay_alu instid0(VALU_DEP_2) | instskip(NEXT) | instid1(VALU_DEP_2)
	v_fma_f64 v[28:29], v[28:29], v[34:35], -v[30:31]
	v_add_f64_e32 v[0:1], v[0:1], v[36:37]
	s_delay_alu instid0(VALU_DEP_2)
	v_add_f64_e32 v[2:3], v[2:3], v[28:29]
	s_and_not1_b32 exec_lo, exec_lo, s24
	s_cbranch_execnz .LBB23_19
; %bb.20:                               ;   in Loop: Header=BB23_5 Depth=1
	s_or_b32 exec_lo, exec_lo, s24
	s_branch .LBB23_2
.LBB23_21:
	s_endpgm
	.section	.rodata,"a",@progbits
	.p2align	6, 0x0
	.amdhsa_kernel _ZL20rocblas_tpmvc_kernelILi512EPKPK19rocblas_complex_numIdEPKPS1_S6_EvbbiT0_llT1_lllT2_li
		.amdhsa_group_segment_fixed_size 0
		.amdhsa_private_segment_fixed_size 0
		.amdhsa_kernarg_size 344
		.amdhsa_user_sgpr_count 2
		.amdhsa_user_sgpr_dispatch_ptr 0
		.amdhsa_user_sgpr_queue_ptr 0
		.amdhsa_user_sgpr_kernarg_segment_ptr 1
		.amdhsa_user_sgpr_dispatch_id 0
		.amdhsa_user_sgpr_kernarg_preload_length 0
		.amdhsa_user_sgpr_kernarg_preload_offset 0
		.amdhsa_user_sgpr_private_segment_size 0
		.amdhsa_wavefront_size32 1
		.amdhsa_uses_dynamic_stack 0
		.amdhsa_enable_private_segment 0
		.amdhsa_system_sgpr_workgroup_id_x 1
		.amdhsa_system_sgpr_workgroup_id_y 0
		.amdhsa_system_sgpr_workgroup_id_z 1
		.amdhsa_system_sgpr_workgroup_info 0
		.amdhsa_system_vgpr_workitem_id 0
		.amdhsa_next_free_vgpr 42
		.amdhsa_next_free_sgpr 32
		.amdhsa_named_barrier_count 0
		.amdhsa_reserve_vcc 1
		.amdhsa_float_round_mode_32 0
		.amdhsa_float_round_mode_16_64 0
		.amdhsa_float_denorm_mode_32 3
		.amdhsa_float_denorm_mode_16_64 3
		.amdhsa_fp16_overflow 0
		.amdhsa_memory_ordered 1
		.amdhsa_forward_progress 1
		.amdhsa_inst_pref_size 9
		.amdhsa_round_robin_scheduling 0
		.amdhsa_exception_fp_ieee_invalid_op 0
		.amdhsa_exception_fp_denorm_src 0
		.amdhsa_exception_fp_ieee_div_zero 0
		.amdhsa_exception_fp_ieee_overflow 0
		.amdhsa_exception_fp_ieee_underflow 0
		.amdhsa_exception_fp_ieee_inexact 0
		.amdhsa_exception_int_div_zero 0
	.end_amdhsa_kernel
	.section	.text._ZL20rocblas_tpmvc_kernelILi512EPKPK19rocblas_complex_numIdEPKPS1_S6_EvbbiT0_llT1_lllT2_li,"axG",@progbits,_ZL20rocblas_tpmvc_kernelILi512EPKPK19rocblas_complex_numIdEPKPS1_S6_EvbbiT0_llT1_lllT2_li,comdat
.Lfunc_end23:
	.size	_ZL20rocblas_tpmvc_kernelILi512EPKPK19rocblas_complex_numIdEPKPS1_S6_EvbbiT0_llT1_lllT2_li, .Lfunc_end23-_ZL20rocblas_tpmvc_kernelILi512EPKPK19rocblas_complex_numIdEPKPS1_S6_EvbbiT0_llT1_lllT2_li
                                        ; -- End function
	.set _ZL20rocblas_tpmvc_kernelILi512EPKPK19rocblas_complex_numIdEPKPS1_S6_EvbbiT0_llT1_lllT2_li.num_vgpr, 42
	.set _ZL20rocblas_tpmvc_kernelILi512EPKPK19rocblas_complex_numIdEPKPS1_S6_EvbbiT0_llT1_lllT2_li.num_agpr, 0
	.set _ZL20rocblas_tpmvc_kernelILi512EPKPK19rocblas_complex_numIdEPKPS1_S6_EvbbiT0_llT1_lllT2_li.numbered_sgpr, 32
	.set _ZL20rocblas_tpmvc_kernelILi512EPKPK19rocblas_complex_numIdEPKPS1_S6_EvbbiT0_llT1_lllT2_li.num_named_barrier, 0
	.set _ZL20rocblas_tpmvc_kernelILi512EPKPK19rocblas_complex_numIdEPKPS1_S6_EvbbiT0_llT1_lllT2_li.private_seg_size, 0
	.set _ZL20rocblas_tpmvc_kernelILi512EPKPK19rocblas_complex_numIdEPKPS1_S6_EvbbiT0_llT1_lllT2_li.uses_vcc, 1
	.set _ZL20rocblas_tpmvc_kernelILi512EPKPK19rocblas_complex_numIdEPKPS1_S6_EvbbiT0_llT1_lllT2_li.uses_flat_scratch, 0
	.set _ZL20rocblas_tpmvc_kernelILi512EPKPK19rocblas_complex_numIdEPKPS1_S6_EvbbiT0_llT1_lllT2_li.has_dyn_sized_stack, 0
	.set _ZL20rocblas_tpmvc_kernelILi512EPKPK19rocblas_complex_numIdEPKPS1_S6_EvbbiT0_llT1_lllT2_li.has_recursion, 0
	.set _ZL20rocblas_tpmvc_kernelILi512EPKPK19rocblas_complex_numIdEPKPS1_S6_EvbbiT0_llT1_lllT2_li.has_indirect_call, 0
	.section	.AMDGPU.csdata,"",@progbits
; Kernel info:
; codeLenInByte = 1080
; TotalNumSgprs: 34
; NumVgprs: 42
; ScratchSize: 0
; MemoryBound: 0
; FloatMode: 240
; IeeeMode: 1
; LDSByteSize: 0 bytes/workgroup (compile time only)
; SGPRBlocks: 0
; VGPRBlocks: 2
; NumSGPRsForWavesPerEU: 34
; NumVGPRsForWavesPerEU: 42
; NamedBarCnt: 0
; Occupancy: 16
; WaveLimiterHint : 1
; COMPUTE_PGM_RSRC2:SCRATCH_EN: 0
; COMPUTE_PGM_RSRC2:USER_SGPR: 2
; COMPUTE_PGM_RSRC2:TRAP_HANDLER: 0
; COMPUTE_PGM_RSRC2:TGID_X_EN: 1
; COMPUTE_PGM_RSRC2:TGID_Y_EN: 0
; COMPUTE_PGM_RSRC2:TGID_Z_EN: 1
; COMPUTE_PGM_RSRC2:TIDIG_COMP_CNT: 0
	.section	.AMDGPU.gpr_maximums,"",@progbits
	.set amdgpu.max_num_vgpr, 0
	.set amdgpu.max_num_agpr, 0
	.set amdgpu.max_num_sgpr, 0
	.section	.AMDGPU.csdata,"",@progbits
	.type	__hip_cuid_3c26c4e509995254,@object ; @__hip_cuid_3c26c4e509995254
	.section	.bss,"aw",@nobits
	.globl	__hip_cuid_3c26c4e509995254
__hip_cuid_3c26c4e509995254:
	.byte	0                               ; 0x0
	.size	__hip_cuid_3c26c4e509995254, 1

	.ident	"AMD clang version 22.0.0git (https://github.com/RadeonOpenCompute/llvm-project roc-7.2.4 26084 f58b06dce1f9c15707c5f808fd002e18c2accf7e)"
	.section	".note.GNU-stack","",@progbits
	.addrsig
	.addrsig_sym __hip_cuid_3c26c4e509995254
	.amdgpu_metadata
---
amdhsa.kernels:
  - .args:
      - .offset:         0
        .size:           1
        .value_kind:     by_value
      - .offset:         1
        .size:           1
        .value_kind:     by_value
      - .offset:         4
        .size:           4
        .value_kind:     by_value
      - .address_space:  global
        .offset:         8
        .size:           8
        .value_kind:     global_buffer
      - .offset:         16
        .size:           8
        .value_kind:     by_value
      - .offset:         24
        .size:           8
        .value_kind:     by_value
      - .address_space:  global
        .offset:         32
        .size:           8
        .value_kind:     global_buffer
      - .offset:         40
        .size:           8
        .value_kind:     by_value
      - .offset:         48
        .size:           8
        .value_kind:     by_value
      - .offset:         56
        .size:           8
        .value_kind:     by_value
      - .address_space:  global
        .offset:         64
        .size:           8
        .value_kind:     global_buffer
      - .offset:         72
        .size:           8
        .value_kind:     by_value
      - .offset:         80
        .size:           4
        .value_kind:     by_value
      - .offset:         88
        .size:           4
        .value_kind:     hidden_block_count_x
      - .offset:         92
        .size:           4
        .value_kind:     hidden_block_count_y
      - .offset:         96
        .size:           4
        .value_kind:     hidden_block_count_z
      - .offset:         100
        .size:           2
        .value_kind:     hidden_group_size_x
      - .offset:         102
        .size:           2
        .value_kind:     hidden_group_size_y
      - .offset:         104
        .size:           2
        .value_kind:     hidden_group_size_z
      - .offset:         106
        .size:           2
        .value_kind:     hidden_remainder_x
      - .offset:         108
        .size:           2
        .value_kind:     hidden_remainder_y
      - .offset:         110
        .size:           2
        .value_kind:     hidden_remainder_z
      - .offset:         128
        .size:           8
        .value_kind:     hidden_global_offset_x
      - .offset:         136
        .size:           8
        .value_kind:     hidden_global_offset_y
      - .offset:         144
        .size:           8
        .value_kind:     hidden_global_offset_z
      - .offset:         152
        .size:           2
        .value_kind:     hidden_grid_dims
    .group_segment_fixed_size: 0
    .kernarg_segment_align: 8
    .kernarg_segment_size: 344
    .language:       OpenCL C
    .language_version:
      - 2
      - 0
    .max_flat_workgroup_size: 512
    .name:           _ZL20rocblas_tpmvn_kernelILi512EPKfPfS2_EvbbiT0_llT1_lllT2_li
    .private_segment_fixed_size: 0
    .sgpr_count:     46
    .sgpr_spill_count: 0
    .symbol:         _ZL20rocblas_tpmvn_kernelILi512EPKfPfS2_EvbbiT0_llT1_lllT2_li.kd
    .uniform_work_group_size: 1
    .uses_dynamic_stack: false
    .vgpr_count:     31
    .vgpr_spill_count: 0
    .wavefront_size: 32
  - .args:
      - .offset:         0
        .size:           1
        .value_kind:     by_value
      - .offset:         1
        .size:           1
        .value_kind:     by_value
      - .offset:         4
        .size:           4
        .value_kind:     by_value
      - .address_space:  global
        .offset:         8
        .size:           8
        .value_kind:     global_buffer
      - .offset:         16
        .size:           8
        .value_kind:     by_value
      - .offset:         24
        .size:           8
        .value_kind:     by_value
      - .address_space:  global
        .offset:         32
        .size:           8
        .value_kind:     global_buffer
      - .offset:         40
        .size:           8
        .value_kind:     by_value
      - .offset:         48
        .size:           8
        .value_kind:     by_value
      - .offset:         56
        .size:           8
        .value_kind:     by_value
      - .address_space:  global
        .offset:         64
        .size:           8
        .value_kind:     global_buffer
      - .offset:         72
        .size:           8
        .value_kind:     by_value
      - .offset:         80
        .size:           4
        .value_kind:     by_value
      - .offset:         88
        .size:           4
        .value_kind:     hidden_block_count_x
      - .offset:         92
        .size:           4
        .value_kind:     hidden_block_count_y
      - .offset:         96
        .size:           4
        .value_kind:     hidden_block_count_z
      - .offset:         100
        .size:           2
        .value_kind:     hidden_group_size_x
      - .offset:         102
        .size:           2
        .value_kind:     hidden_group_size_y
      - .offset:         104
        .size:           2
        .value_kind:     hidden_group_size_z
      - .offset:         106
        .size:           2
        .value_kind:     hidden_remainder_x
      - .offset:         108
        .size:           2
        .value_kind:     hidden_remainder_y
      - .offset:         110
        .size:           2
        .value_kind:     hidden_remainder_z
      - .offset:         128
        .size:           8
        .value_kind:     hidden_global_offset_x
      - .offset:         136
        .size:           8
        .value_kind:     hidden_global_offset_y
      - .offset:         144
        .size:           8
        .value_kind:     hidden_global_offset_z
      - .offset:         152
        .size:           2
        .value_kind:     hidden_grid_dims
    .group_segment_fixed_size: 0
    .kernarg_segment_align: 8
    .kernarg_segment_size: 344
    .language:       OpenCL C
    .language_version:
      - 2
      - 0
    .max_flat_workgroup_size: 512
    .name:           _ZL20rocblas_tpmvt_kernelILi512EPKfPfS2_EvbbiT0_llT1_lllT2_li
    .private_segment_fixed_size: 0
    .sgpr_count:     37
    .sgpr_spill_count: 0
    .symbol:         _ZL20rocblas_tpmvt_kernelILi512EPKfPfS2_EvbbiT0_llT1_lllT2_li.kd
    .uniform_work_group_size: 1
    .uses_dynamic_stack: false
    .vgpr_count:     28
    .vgpr_spill_count: 0
    .wavefront_size: 32
  - .args:
      - .offset:         0
        .size:           1
        .value_kind:     by_value
      - .offset:         1
        .size:           1
        .value_kind:     by_value
      - .offset:         4
        .size:           4
        .value_kind:     by_value
      - .address_space:  global
        .offset:         8
        .size:           8
        .value_kind:     global_buffer
      - .offset:         16
        .size:           8
        .value_kind:     by_value
      - .offset:         24
        .size:           8
        .value_kind:     by_value
      - .address_space:  global
        .offset:         32
        .size:           8
        .value_kind:     global_buffer
      - .offset:         40
        .size:           8
        .value_kind:     by_value
      - .offset:         48
        .size:           8
        .value_kind:     by_value
      - .offset:         56
        .size:           8
        .value_kind:     by_value
      - .address_space:  global
        .offset:         64
        .size:           8
        .value_kind:     global_buffer
      - .offset:         72
        .size:           8
        .value_kind:     by_value
      - .offset:         80
        .size:           4
        .value_kind:     by_value
      - .offset:         88
        .size:           4
        .value_kind:     hidden_block_count_x
      - .offset:         92
        .size:           4
        .value_kind:     hidden_block_count_y
      - .offset:         96
        .size:           4
        .value_kind:     hidden_block_count_z
      - .offset:         100
        .size:           2
        .value_kind:     hidden_group_size_x
      - .offset:         102
        .size:           2
        .value_kind:     hidden_group_size_y
      - .offset:         104
        .size:           2
        .value_kind:     hidden_group_size_z
      - .offset:         106
        .size:           2
        .value_kind:     hidden_remainder_x
      - .offset:         108
        .size:           2
        .value_kind:     hidden_remainder_y
      - .offset:         110
        .size:           2
        .value_kind:     hidden_remainder_z
      - .offset:         128
        .size:           8
        .value_kind:     hidden_global_offset_x
      - .offset:         136
        .size:           8
        .value_kind:     hidden_global_offset_y
      - .offset:         144
        .size:           8
        .value_kind:     hidden_global_offset_z
      - .offset:         152
        .size:           2
        .value_kind:     hidden_grid_dims
    .group_segment_fixed_size: 0
    .kernarg_segment_align: 8
    .kernarg_segment_size: 344
    .language:       OpenCL C
    .language_version:
      - 2
      - 0
    .max_flat_workgroup_size: 512
    .name:           _ZL20rocblas_tpmvc_kernelILi512EPKfPfS2_EvbbiT0_llT1_lllT2_li
    .private_segment_fixed_size: 0
    .sgpr_count:     37
    .sgpr_spill_count: 0
    .symbol:         _ZL20rocblas_tpmvc_kernelILi512EPKfPfS2_EvbbiT0_llT1_lllT2_li.kd
    .uniform_work_group_size: 1
    .uses_dynamic_stack: false
    .vgpr_count:     28
    .vgpr_spill_count: 0
    .wavefront_size: 32
  - .args:
      - .offset:         0
        .size:           1
        .value_kind:     by_value
      - .offset:         1
        .size:           1
        .value_kind:     by_value
      - .offset:         4
        .size:           4
        .value_kind:     by_value
      - .address_space:  global
        .offset:         8
        .size:           8
        .value_kind:     global_buffer
      - .offset:         16
        .size:           8
        .value_kind:     by_value
      - .offset:         24
        .size:           8
        .value_kind:     by_value
      - .address_space:  global
        .offset:         32
        .size:           8
        .value_kind:     global_buffer
      - .offset:         40
        .size:           8
        .value_kind:     by_value
      - .offset:         48
        .size:           8
        .value_kind:     by_value
      - .offset:         56
        .size:           8
        .value_kind:     by_value
      - .address_space:  global
        .offset:         64
        .size:           8
        .value_kind:     global_buffer
      - .offset:         72
        .size:           8
        .value_kind:     by_value
      - .offset:         80
        .size:           4
        .value_kind:     by_value
      - .offset:         88
        .size:           4
        .value_kind:     hidden_block_count_x
      - .offset:         92
        .size:           4
        .value_kind:     hidden_block_count_y
      - .offset:         96
        .size:           4
        .value_kind:     hidden_block_count_z
      - .offset:         100
        .size:           2
        .value_kind:     hidden_group_size_x
      - .offset:         102
        .size:           2
        .value_kind:     hidden_group_size_y
      - .offset:         104
        .size:           2
        .value_kind:     hidden_group_size_z
      - .offset:         106
        .size:           2
        .value_kind:     hidden_remainder_x
      - .offset:         108
        .size:           2
        .value_kind:     hidden_remainder_y
      - .offset:         110
        .size:           2
        .value_kind:     hidden_remainder_z
      - .offset:         128
        .size:           8
        .value_kind:     hidden_global_offset_x
      - .offset:         136
        .size:           8
        .value_kind:     hidden_global_offset_y
      - .offset:         144
        .size:           8
        .value_kind:     hidden_global_offset_z
      - .offset:         152
        .size:           2
        .value_kind:     hidden_grid_dims
    .group_segment_fixed_size: 0
    .kernarg_segment_align: 8
    .kernarg_segment_size: 344
    .language:       OpenCL C
    .language_version:
      - 2
      - 0
    .max_flat_workgroup_size: 512
    .name:           _ZL20rocblas_tpmvn_kernelILi512EPKdPdS2_EvbbiT0_llT1_lllT2_li
    .private_segment_fixed_size: 0
    .sgpr_count:     46
    .sgpr_spill_count: 0
    .symbol:         _ZL20rocblas_tpmvn_kernelILi512EPKdPdS2_EvbbiT0_llT1_lllT2_li.kd
    .uniform_work_group_size: 1
    .uses_dynamic_stack: false
    .vgpr_count:     36
    .vgpr_spill_count: 0
    .wavefront_size: 32
  - .args:
      - .offset:         0
        .size:           1
        .value_kind:     by_value
      - .offset:         1
        .size:           1
        .value_kind:     by_value
      - .offset:         4
        .size:           4
        .value_kind:     by_value
      - .address_space:  global
        .offset:         8
        .size:           8
        .value_kind:     global_buffer
      - .offset:         16
        .size:           8
        .value_kind:     by_value
      - .offset:         24
        .size:           8
        .value_kind:     by_value
      - .address_space:  global
        .offset:         32
        .size:           8
        .value_kind:     global_buffer
      - .offset:         40
        .size:           8
        .value_kind:     by_value
      - .offset:         48
        .size:           8
        .value_kind:     by_value
      - .offset:         56
        .size:           8
        .value_kind:     by_value
      - .address_space:  global
        .offset:         64
        .size:           8
        .value_kind:     global_buffer
      - .offset:         72
        .size:           8
        .value_kind:     by_value
      - .offset:         80
        .size:           4
        .value_kind:     by_value
      - .offset:         88
        .size:           4
        .value_kind:     hidden_block_count_x
      - .offset:         92
        .size:           4
        .value_kind:     hidden_block_count_y
      - .offset:         96
        .size:           4
        .value_kind:     hidden_block_count_z
      - .offset:         100
        .size:           2
        .value_kind:     hidden_group_size_x
      - .offset:         102
        .size:           2
        .value_kind:     hidden_group_size_y
      - .offset:         104
        .size:           2
        .value_kind:     hidden_group_size_z
      - .offset:         106
        .size:           2
        .value_kind:     hidden_remainder_x
      - .offset:         108
        .size:           2
        .value_kind:     hidden_remainder_y
      - .offset:         110
        .size:           2
        .value_kind:     hidden_remainder_z
      - .offset:         128
        .size:           8
        .value_kind:     hidden_global_offset_x
      - .offset:         136
        .size:           8
        .value_kind:     hidden_global_offset_y
      - .offset:         144
        .size:           8
        .value_kind:     hidden_global_offset_z
      - .offset:         152
        .size:           2
        .value_kind:     hidden_grid_dims
    .group_segment_fixed_size: 0
    .kernarg_segment_align: 8
    .kernarg_segment_size: 344
    .language:       OpenCL C
    .language_version:
      - 2
      - 0
    .max_flat_workgroup_size: 512
    .name:           _ZL20rocblas_tpmvt_kernelILi512EPKdPdS2_EvbbiT0_llT1_lllT2_li
    .private_segment_fixed_size: 0
    .sgpr_count:     37
    .sgpr_spill_count: 0
    .symbol:         _ZL20rocblas_tpmvt_kernelILi512EPKdPdS2_EvbbiT0_llT1_lllT2_li.kd
    .uniform_work_group_size: 1
    .uses_dynamic_stack: false
    .vgpr_count:     32
    .vgpr_spill_count: 0
    .wavefront_size: 32
  - .args:
      - .offset:         0
        .size:           1
        .value_kind:     by_value
      - .offset:         1
        .size:           1
        .value_kind:     by_value
      - .offset:         4
        .size:           4
        .value_kind:     by_value
      - .address_space:  global
        .offset:         8
        .size:           8
        .value_kind:     global_buffer
      - .offset:         16
        .size:           8
        .value_kind:     by_value
      - .offset:         24
        .size:           8
        .value_kind:     by_value
      - .address_space:  global
        .offset:         32
        .size:           8
        .value_kind:     global_buffer
      - .offset:         40
        .size:           8
        .value_kind:     by_value
      - .offset:         48
        .size:           8
        .value_kind:     by_value
      - .offset:         56
        .size:           8
        .value_kind:     by_value
      - .address_space:  global
        .offset:         64
        .size:           8
        .value_kind:     global_buffer
      - .offset:         72
        .size:           8
        .value_kind:     by_value
      - .offset:         80
        .size:           4
        .value_kind:     by_value
      - .offset:         88
        .size:           4
        .value_kind:     hidden_block_count_x
      - .offset:         92
        .size:           4
        .value_kind:     hidden_block_count_y
      - .offset:         96
        .size:           4
        .value_kind:     hidden_block_count_z
      - .offset:         100
        .size:           2
        .value_kind:     hidden_group_size_x
      - .offset:         102
        .size:           2
        .value_kind:     hidden_group_size_y
      - .offset:         104
        .size:           2
        .value_kind:     hidden_group_size_z
      - .offset:         106
        .size:           2
        .value_kind:     hidden_remainder_x
      - .offset:         108
        .size:           2
        .value_kind:     hidden_remainder_y
      - .offset:         110
        .size:           2
        .value_kind:     hidden_remainder_z
      - .offset:         128
        .size:           8
        .value_kind:     hidden_global_offset_x
      - .offset:         136
        .size:           8
        .value_kind:     hidden_global_offset_y
      - .offset:         144
        .size:           8
        .value_kind:     hidden_global_offset_z
      - .offset:         152
        .size:           2
        .value_kind:     hidden_grid_dims
    .group_segment_fixed_size: 0
    .kernarg_segment_align: 8
    .kernarg_segment_size: 344
    .language:       OpenCL C
    .language_version:
      - 2
      - 0
    .max_flat_workgroup_size: 512
    .name:           _ZL20rocblas_tpmvc_kernelILi512EPKdPdS2_EvbbiT0_llT1_lllT2_li
    .private_segment_fixed_size: 0
    .sgpr_count:     37
    .sgpr_spill_count: 0
    .symbol:         _ZL20rocblas_tpmvc_kernelILi512EPKdPdS2_EvbbiT0_llT1_lllT2_li.kd
    .uniform_work_group_size: 1
    .uses_dynamic_stack: false
    .vgpr_count:     32
    .vgpr_spill_count: 0
    .wavefront_size: 32
  - .args:
      - .offset:         0
        .size:           1
        .value_kind:     by_value
      - .offset:         1
        .size:           1
        .value_kind:     by_value
      - .offset:         4
        .size:           4
        .value_kind:     by_value
      - .address_space:  global
        .offset:         8
        .size:           8
        .value_kind:     global_buffer
      - .offset:         16
        .size:           8
        .value_kind:     by_value
      - .offset:         24
        .size:           8
        .value_kind:     by_value
      - .address_space:  global
        .offset:         32
        .size:           8
        .value_kind:     global_buffer
      - .offset:         40
        .size:           8
        .value_kind:     by_value
      - .offset:         48
        .size:           8
        .value_kind:     by_value
      - .offset:         56
        .size:           8
        .value_kind:     by_value
      - .address_space:  global
        .offset:         64
        .size:           8
        .value_kind:     global_buffer
      - .offset:         72
        .size:           8
        .value_kind:     by_value
      - .offset:         80
        .size:           4
        .value_kind:     by_value
      - .offset:         88
        .size:           4
        .value_kind:     hidden_block_count_x
      - .offset:         92
        .size:           4
        .value_kind:     hidden_block_count_y
      - .offset:         96
        .size:           4
        .value_kind:     hidden_block_count_z
      - .offset:         100
        .size:           2
        .value_kind:     hidden_group_size_x
      - .offset:         102
        .size:           2
        .value_kind:     hidden_group_size_y
      - .offset:         104
        .size:           2
        .value_kind:     hidden_group_size_z
      - .offset:         106
        .size:           2
        .value_kind:     hidden_remainder_x
      - .offset:         108
        .size:           2
        .value_kind:     hidden_remainder_y
      - .offset:         110
        .size:           2
        .value_kind:     hidden_remainder_z
      - .offset:         128
        .size:           8
        .value_kind:     hidden_global_offset_x
      - .offset:         136
        .size:           8
        .value_kind:     hidden_global_offset_y
      - .offset:         144
        .size:           8
        .value_kind:     hidden_global_offset_z
      - .offset:         152
        .size:           2
        .value_kind:     hidden_grid_dims
    .group_segment_fixed_size: 0
    .kernarg_segment_align: 8
    .kernarg_segment_size: 344
    .language:       OpenCL C
    .language_version:
      - 2
      - 0
    .max_flat_workgroup_size: 512
    .name:           _ZL20rocblas_tpmvn_kernelILi512EPK19rocblas_complex_numIfEPS1_S4_EvbbiT0_llT1_lllT2_li
    .private_segment_fixed_size: 0
    .sgpr_count:     46
    .sgpr_spill_count: 0
    .symbol:         _ZL20rocblas_tpmvn_kernelILi512EPK19rocblas_complex_numIfEPS1_S4_EvbbiT0_llT1_lllT2_li.kd
    .uniform_work_group_size: 1
    .uses_dynamic_stack: false
    .vgpr_count:     38
    .vgpr_spill_count: 0
    .wavefront_size: 32
  - .args:
      - .offset:         0
        .size:           1
        .value_kind:     by_value
      - .offset:         1
        .size:           1
        .value_kind:     by_value
      - .offset:         4
        .size:           4
        .value_kind:     by_value
      - .address_space:  global
        .offset:         8
        .size:           8
        .value_kind:     global_buffer
      - .offset:         16
        .size:           8
        .value_kind:     by_value
      - .offset:         24
        .size:           8
        .value_kind:     by_value
      - .address_space:  global
        .offset:         32
        .size:           8
        .value_kind:     global_buffer
      - .offset:         40
        .size:           8
        .value_kind:     by_value
      - .offset:         48
        .size:           8
        .value_kind:     by_value
      - .offset:         56
        .size:           8
        .value_kind:     by_value
      - .address_space:  global
        .offset:         64
        .size:           8
        .value_kind:     global_buffer
      - .offset:         72
        .size:           8
        .value_kind:     by_value
      - .offset:         80
        .size:           4
        .value_kind:     by_value
      - .offset:         88
        .size:           4
        .value_kind:     hidden_block_count_x
      - .offset:         92
        .size:           4
        .value_kind:     hidden_block_count_y
      - .offset:         96
        .size:           4
        .value_kind:     hidden_block_count_z
      - .offset:         100
        .size:           2
        .value_kind:     hidden_group_size_x
      - .offset:         102
        .size:           2
        .value_kind:     hidden_group_size_y
      - .offset:         104
        .size:           2
        .value_kind:     hidden_group_size_z
      - .offset:         106
        .size:           2
        .value_kind:     hidden_remainder_x
      - .offset:         108
        .size:           2
        .value_kind:     hidden_remainder_y
      - .offset:         110
        .size:           2
        .value_kind:     hidden_remainder_z
      - .offset:         128
        .size:           8
        .value_kind:     hidden_global_offset_x
      - .offset:         136
        .size:           8
        .value_kind:     hidden_global_offset_y
      - .offset:         144
        .size:           8
        .value_kind:     hidden_global_offset_z
      - .offset:         152
        .size:           2
        .value_kind:     hidden_grid_dims
    .group_segment_fixed_size: 0
    .kernarg_segment_align: 8
    .kernarg_segment_size: 344
    .language:       OpenCL C
    .language_version:
      - 2
      - 0
    .max_flat_workgroup_size: 512
    .name:           _ZL20rocblas_tpmvt_kernelILi512EPK19rocblas_complex_numIfEPS1_S4_EvbbiT0_llT1_lllT2_li
    .private_segment_fixed_size: 0
    .sgpr_count:     37
    .sgpr_spill_count: 0
    .symbol:         _ZL20rocblas_tpmvt_kernelILi512EPK19rocblas_complex_numIfEPS1_S4_EvbbiT0_llT1_lllT2_li.kd
    .uniform_work_group_size: 1
    .uses_dynamic_stack: false
    .vgpr_count:     36
    .vgpr_spill_count: 0
    .wavefront_size: 32
  - .args:
      - .offset:         0
        .size:           1
        .value_kind:     by_value
      - .offset:         1
        .size:           1
        .value_kind:     by_value
      - .offset:         4
        .size:           4
        .value_kind:     by_value
      - .address_space:  global
        .offset:         8
        .size:           8
        .value_kind:     global_buffer
      - .offset:         16
        .size:           8
        .value_kind:     by_value
      - .offset:         24
        .size:           8
        .value_kind:     by_value
      - .address_space:  global
        .offset:         32
        .size:           8
        .value_kind:     global_buffer
      - .offset:         40
        .size:           8
        .value_kind:     by_value
      - .offset:         48
        .size:           8
        .value_kind:     by_value
      - .offset:         56
        .size:           8
        .value_kind:     by_value
      - .address_space:  global
        .offset:         64
        .size:           8
        .value_kind:     global_buffer
      - .offset:         72
        .size:           8
        .value_kind:     by_value
      - .offset:         80
        .size:           4
        .value_kind:     by_value
      - .offset:         88
        .size:           4
        .value_kind:     hidden_block_count_x
      - .offset:         92
        .size:           4
        .value_kind:     hidden_block_count_y
      - .offset:         96
        .size:           4
        .value_kind:     hidden_block_count_z
      - .offset:         100
        .size:           2
        .value_kind:     hidden_group_size_x
      - .offset:         102
        .size:           2
        .value_kind:     hidden_group_size_y
      - .offset:         104
        .size:           2
        .value_kind:     hidden_group_size_z
      - .offset:         106
        .size:           2
        .value_kind:     hidden_remainder_x
      - .offset:         108
        .size:           2
        .value_kind:     hidden_remainder_y
      - .offset:         110
        .size:           2
        .value_kind:     hidden_remainder_z
      - .offset:         128
        .size:           8
        .value_kind:     hidden_global_offset_x
      - .offset:         136
        .size:           8
        .value_kind:     hidden_global_offset_y
      - .offset:         144
        .size:           8
        .value_kind:     hidden_global_offset_z
      - .offset:         152
        .size:           2
        .value_kind:     hidden_grid_dims
    .group_segment_fixed_size: 0
    .kernarg_segment_align: 8
    .kernarg_segment_size: 344
    .language:       OpenCL C
    .language_version:
      - 2
      - 0
    .max_flat_workgroup_size: 512
    .name:           _ZL20rocblas_tpmvc_kernelILi512EPK19rocblas_complex_numIfEPS1_S4_EvbbiT0_llT1_lllT2_li
    .private_segment_fixed_size: 0
    .sgpr_count:     37
    .sgpr_spill_count: 0
    .symbol:         _ZL20rocblas_tpmvc_kernelILi512EPK19rocblas_complex_numIfEPS1_S4_EvbbiT0_llT1_lllT2_li.kd
    .uniform_work_group_size: 1
    .uses_dynamic_stack: false
    .vgpr_count:     36
    .vgpr_spill_count: 0
    .wavefront_size: 32
  - .args:
      - .offset:         0
        .size:           1
        .value_kind:     by_value
      - .offset:         1
        .size:           1
        .value_kind:     by_value
      - .offset:         4
        .size:           4
        .value_kind:     by_value
      - .address_space:  global
        .offset:         8
        .size:           8
        .value_kind:     global_buffer
      - .offset:         16
        .size:           8
        .value_kind:     by_value
      - .offset:         24
        .size:           8
        .value_kind:     by_value
      - .address_space:  global
        .offset:         32
        .size:           8
        .value_kind:     global_buffer
      - .offset:         40
        .size:           8
        .value_kind:     by_value
      - .offset:         48
        .size:           8
        .value_kind:     by_value
      - .offset:         56
        .size:           8
        .value_kind:     by_value
      - .address_space:  global
        .offset:         64
        .size:           8
        .value_kind:     global_buffer
      - .offset:         72
        .size:           8
        .value_kind:     by_value
      - .offset:         80
        .size:           4
        .value_kind:     by_value
      - .offset:         88
        .size:           4
        .value_kind:     hidden_block_count_x
      - .offset:         92
        .size:           4
        .value_kind:     hidden_block_count_y
      - .offset:         96
        .size:           4
        .value_kind:     hidden_block_count_z
      - .offset:         100
        .size:           2
        .value_kind:     hidden_group_size_x
      - .offset:         102
        .size:           2
        .value_kind:     hidden_group_size_y
      - .offset:         104
        .size:           2
        .value_kind:     hidden_group_size_z
      - .offset:         106
        .size:           2
        .value_kind:     hidden_remainder_x
      - .offset:         108
        .size:           2
        .value_kind:     hidden_remainder_y
      - .offset:         110
        .size:           2
        .value_kind:     hidden_remainder_z
      - .offset:         128
        .size:           8
        .value_kind:     hidden_global_offset_x
      - .offset:         136
        .size:           8
        .value_kind:     hidden_global_offset_y
      - .offset:         144
        .size:           8
        .value_kind:     hidden_global_offset_z
      - .offset:         152
        .size:           2
        .value_kind:     hidden_grid_dims
    .group_segment_fixed_size: 0
    .kernarg_segment_align: 8
    .kernarg_segment_size: 344
    .language:       OpenCL C
    .language_version:
      - 2
      - 0
    .max_flat_workgroup_size: 512
    .name:           _ZL20rocblas_tpmvn_kernelILi512EPK19rocblas_complex_numIdEPS1_S4_EvbbiT0_llT1_lllT2_li
    .private_segment_fixed_size: 0
    .sgpr_count:     48
    .sgpr_spill_count: 0
    .symbol:         _ZL20rocblas_tpmvn_kernelILi512EPK19rocblas_complex_numIdEPS1_S4_EvbbiT0_llT1_lllT2_li.kd
    .uniform_work_group_size: 1
    .uses_dynamic_stack: false
    .vgpr_count:     42
    .vgpr_spill_count: 0
    .wavefront_size: 32
  - .args:
      - .offset:         0
        .size:           1
        .value_kind:     by_value
      - .offset:         1
        .size:           1
        .value_kind:     by_value
      - .offset:         4
        .size:           4
        .value_kind:     by_value
      - .address_space:  global
        .offset:         8
        .size:           8
        .value_kind:     global_buffer
      - .offset:         16
        .size:           8
        .value_kind:     by_value
      - .offset:         24
        .size:           8
        .value_kind:     by_value
      - .address_space:  global
        .offset:         32
        .size:           8
        .value_kind:     global_buffer
      - .offset:         40
        .size:           8
        .value_kind:     by_value
      - .offset:         48
        .size:           8
        .value_kind:     by_value
      - .offset:         56
        .size:           8
        .value_kind:     by_value
      - .address_space:  global
        .offset:         64
        .size:           8
        .value_kind:     global_buffer
      - .offset:         72
        .size:           8
        .value_kind:     by_value
      - .offset:         80
        .size:           4
        .value_kind:     by_value
      - .offset:         88
        .size:           4
        .value_kind:     hidden_block_count_x
      - .offset:         92
        .size:           4
        .value_kind:     hidden_block_count_y
      - .offset:         96
        .size:           4
        .value_kind:     hidden_block_count_z
      - .offset:         100
        .size:           2
        .value_kind:     hidden_group_size_x
      - .offset:         102
        .size:           2
        .value_kind:     hidden_group_size_y
      - .offset:         104
        .size:           2
        .value_kind:     hidden_group_size_z
      - .offset:         106
        .size:           2
        .value_kind:     hidden_remainder_x
      - .offset:         108
        .size:           2
        .value_kind:     hidden_remainder_y
      - .offset:         110
        .size:           2
        .value_kind:     hidden_remainder_z
      - .offset:         128
        .size:           8
        .value_kind:     hidden_global_offset_x
      - .offset:         136
        .size:           8
        .value_kind:     hidden_global_offset_y
      - .offset:         144
        .size:           8
        .value_kind:     hidden_global_offset_z
      - .offset:         152
        .size:           2
        .value_kind:     hidden_grid_dims
    .group_segment_fixed_size: 0
    .kernarg_segment_align: 8
    .kernarg_segment_size: 344
    .language:       OpenCL C
    .language_version:
      - 2
      - 0
    .max_flat_workgroup_size: 512
    .name:           _ZL20rocblas_tpmvt_kernelILi512EPK19rocblas_complex_numIdEPS1_S4_EvbbiT0_llT1_lllT2_li
    .private_segment_fixed_size: 0
    .sgpr_count:     39
    .sgpr_spill_count: 0
    .symbol:         _ZL20rocblas_tpmvt_kernelILi512EPK19rocblas_complex_numIdEPS1_S4_EvbbiT0_llT1_lllT2_li.kd
    .uniform_work_group_size: 1
    .uses_dynamic_stack: false
    .vgpr_count:     42
    .vgpr_spill_count: 0
    .wavefront_size: 32
  - .args:
      - .offset:         0
        .size:           1
        .value_kind:     by_value
      - .offset:         1
        .size:           1
        .value_kind:     by_value
      - .offset:         4
        .size:           4
        .value_kind:     by_value
      - .address_space:  global
        .offset:         8
        .size:           8
        .value_kind:     global_buffer
      - .offset:         16
        .size:           8
        .value_kind:     by_value
      - .offset:         24
        .size:           8
        .value_kind:     by_value
      - .address_space:  global
        .offset:         32
        .size:           8
        .value_kind:     global_buffer
      - .offset:         40
        .size:           8
        .value_kind:     by_value
      - .offset:         48
        .size:           8
        .value_kind:     by_value
      - .offset:         56
        .size:           8
        .value_kind:     by_value
      - .address_space:  global
        .offset:         64
        .size:           8
        .value_kind:     global_buffer
      - .offset:         72
        .size:           8
        .value_kind:     by_value
      - .offset:         80
        .size:           4
        .value_kind:     by_value
      - .offset:         88
        .size:           4
        .value_kind:     hidden_block_count_x
      - .offset:         92
        .size:           4
        .value_kind:     hidden_block_count_y
      - .offset:         96
        .size:           4
        .value_kind:     hidden_block_count_z
      - .offset:         100
        .size:           2
        .value_kind:     hidden_group_size_x
      - .offset:         102
        .size:           2
        .value_kind:     hidden_group_size_y
      - .offset:         104
        .size:           2
        .value_kind:     hidden_group_size_z
      - .offset:         106
        .size:           2
        .value_kind:     hidden_remainder_x
      - .offset:         108
        .size:           2
        .value_kind:     hidden_remainder_y
      - .offset:         110
        .size:           2
        .value_kind:     hidden_remainder_z
      - .offset:         128
        .size:           8
        .value_kind:     hidden_global_offset_x
      - .offset:         136
        .size:           8
        .value_kind:     hidden_global_offset_y
      - .offset:         144
        .size:           8
        .value_kind:     hidden_global_offset_z
      - .offset:         152
        .size:           2
        .value_kind:     hidden_grid_dims
    .group_segment_fixed_size: 0
    .kernarg_segment_align: 8
    .kernarg_segment_size: 344
    .language:       OpenCL C
    .language_version:
      - 2
      - 0
    .max_flat_workgroup_size: 512
    .name:           _ZL20rocblas_tpmvc_kernelILi512EPK19rocblas_complex_numIdEPS1_S4_EvbbiT0_llT1_lllT2_li
    .private_segment_fixed_size: 0
    .sgpr_count:     39
    .sgpr_spill_count: 0
    .symbol:         _ZL20rocblas_tpmvc_kernelILi512EPK19rocblas_complex_numIdEPS1_S4_EvbbiT0_llT1_lllT2_li.kd
    .uniform_work_group_size: 1
    .uses_dynamic_stack: false
    .vgpr_count:     42
    .vgpr_spill_count: 0
    .wavefront_size: 32
  - .args:
      - .offset:         0
        .size:           1
        .value_kind:     by_value
      - .offset:         1
        .size:           1
        .value_kind:     by_value
      - .offset:         4
        .size:           4
        .value_kind:     by_value
      - .address_space:  global
        .offset:         8
        .size:           8
        .value_kind:     global_buffer
      - .offset:         16
        .size:           8
        .value_kind:     by_value
      - .offset:         24
        .size:           8
        .value_kind:     by_value
      - .address_space:  global
        .offset:         32
        .size:           8
        .value_kind:     global_buffer
      - .offset:         40
        .size:           8
        .value_kind:     by_value
      - .offset:         48
        .size:           8
        .value_kind:     by_value
      - .offset:         56
        .size:           8
        .value_kind:     by_value
      - .address_space:  global
        .offset:         64
        .size:           8
        .value_kind:     global_buffer
      - .offset:         72
        .size:           8
        .value_kind:     by_value
      - .offset:         80
        .size:           4
        .value_kind:     by_value
      - .offset:         88
        .size:           4
        .value_kind:     hidden_block_count_x
      - .offset:         92
        .size:           4
        .value_kind:     hidden_block_count_y
      - .offset:         96
        .size:           4
        .value_kind:     hidden_block_count_z
      - .offset:         100
        .size:           2
        .value_kind:     hidden_group_size_x
      - .offset:         102
        .size:           2
        .value_kind:     hidden_group_size_y
      - .offset:         104
        .size:           2
        .value_kind:     hidden_group_size_z
      - .offset:         106
        .size:           2
        .value_kind:     hidden_remainder_x
      - .offset:         108
        .size:           2
        .value_kind:     hidden_remainder_y
      - .offset:         110
        .size:           2
        .value_kind:     hidden_remainder_z
      - .offset:         128
        .size:           8
        .value_kind:     hidden_global_offset_x
      - .offset:         136
        .size:           8
        .value_kind:     hidden_global_offset_y
      - .offset:         144
        .size:           8
        .value_kind:     hidden_global_offset_z
      - .offset:         152
        .size:           2
        .value_kind:     hidden_grid_dims
    .group_segment_fixed_size: 0
    .kernarg_segment_align: 8
    .kernarg_segment_size: 344
    .language:       OpenCL C
    .language_version:
      - 2
      - 0
    .max_flat_workgroup_size: 512
    .name:           _ZL20rocblas_tpmvn_kernelILi512EPKPKfPKPfS4_EvbbiT0_llT1_lllT2_li
    .private_segment_fixed_size: 0
    .sgpr_count:     44
    .sgpr_spill_count: 0
    .symbol:         _ZL20rocblas_tpmvn_kernelILi512EPKPKfPKPfS4_EvbbiT0_llT1_lllT2_li.kd
    .uniform_work_group_size: 1
    .uses_dynamic_stack: false
    .vgpr_count:     31
    .vgpr_spill_count: 0
    .wavefront_size: 32
  - .args:
      - .offset:         0
        .size:           1
        .value_kind:     by_value
      - .offset:         1
        .size:           1
        .value_kind:     by_value
      - .offset:         4
        .size:           4
        .value_kind:     by_value
      - .address_space:  global
        .offset:         8
        .size:           8
        .value_kind:     global_buffer
      - .offset:         16
        .size:           8
        .value_kind:     by_value
      - .offset:         24
        .size:           8
        .value_kind:     by_value
      - .address_space:  global
        .offset:         32
        .size:           8
        .value_kind:     global_buffer
      - .offset:         40
        .size:           8
        .value_kind:     by_value
      - .offset:         48
        .size:           8
        .value_kind:     by_value
      - .offset:         56
        .size:           8
        .value_kind:     by_value
      - .address_space:  global
        .offset:         64
        .size:           8
        .value_kind:     global_buffer
      - .offset:         72
        .size:           8
        .value_kind:     by_value
      - .offset:         80
        .size:           4
        .value_kind:     by_value
      - .offset:         88
        .size:           4
        .value_kind:     hidden_block_count_x
      - .offset:         92
        .size:           4
        .value_kind:     hidden_block_count_y
      - .offset:         96
        .size:           4
        .value_kind:     hidden_block_count_z
      - .offset:         100
        .size:           2
        .value_kind:     hidden_group_size_x
      - .offset:         102
        .size:           2
        .value_kind:     hidden_group_size_y
      - .offset:         104
        .size:           2
        .value_kind:     hidden_group_size_z
      - .offset:         106
        .size:           2
        .value_kind:     hidden_remainder_x
      - .offset:         108
        .size:           2
        .value_kind:     hidden_remainder_y
      - .offset:         110
        .size:           2
        .value_kind:     hidden_remainder_z
      - .offset:         128
        .size:           8
        .value_kind:     hidden_global_offset_x
      - .offset:         136
        .size:           8
        .value_kind:     hidden_global_offset_y
      - .offset:         144
        .size:           8
        .value_kind:     hidden_global_offset_z
      - .offset:         152
        .size:           2
        .value_kind:     hidden_grid_dims
    .group_segment_fixed_size: 0
    .kernarg_segment_align: 8
    .kernarg_segment_size: 344
    .language:       OpenCL C
    .language_version:
      - 2
      - 0
    .max_flat_workgroup_size: 512
    .name:           _ZL20rocblas_tpmvt_kernelILi512EPKPKfPKPfS4_EvbbiT0_llT1_lllT2_li
    .private_segment_fixed_size: 0
    .sgpr_count:     34
    .sgpr_spill_count: 0
    .symbol:         _ZL20rocblas_tpmvt_kernelILi512EPKPKfPKPfS4_EvbbiT0_llT1_lllT2_li.kd
    .uniform_work_group_size: 1
    .uses_dynamic_stack: false
    .vgpr_count:     28
    .vgpr_spill_count: 0
    .wavefront_size: 32
  - .args:
      - .offset:         0
        .size:           1
        .value_kind:     by_value
      - .offset:         1
        .size:           1
        .value_kind:     by_value
      - .offset:         4
        .size:           4
        .value_kind:     by_value
      - .address_space:  global
        .offset:         8
        .size:           8
        .value_kind:     global_buffer
      - .offset:         16
        .size:           8
        .value_kind:     by_value
      - .offset:         24
        .size:           8
        .value_kind:     by_value
      - .address_space:  global
        .offset:         32
        .size:           8
        .value_kind:     global_buffer
      - .offset:         40
        .size:           8
        .value_kind:     by_value
      - .offset:         48
        .size:           8
        .value_kind:     by_value
      - .offset:         56
        .size:           8
        .value_kind:     by_value
      - .address_space:  global
        .offset:         64
        .size:           8
        .value_kind:     global_buffer
      - .offset:         72
        .size:           8
        .value_kind:     by_value
      - .offset:         80
        .size:           4
        .value_kind:     by_value
      - .offset:         88
        .size:           4
        .value_kind:     hidden_block_count_x
      - .offset:         92
        .size:           4
        .value_kind:     hidden_block_count_y
      - .offset:         96
        .size:           4
        .value_kind:     hidden_block_count_z
      - .offset:         100
        .size:           2
        .value_kind:     hidden_group_size_x
      - .offset:         102
        .size:           2
        .value_kind:     hidden_group_size_y
      - .offset:         104
        .size:           2
        .value_kind:     hidden_group_size_z
      - .offset:         106
        .size:           2
        .value_kind:     hidden_remainder_x
      - .offset:         108
        .size:           2
        .value_kind:     hidden_remainder_y
      - .offset:         110
        .size:           2
        .value_kind:     hidden_remainder_z
      - .offset:         128
        .size:           8
        .value_kind:     hidden_global_offset_x
      - .offset:         136
        .size:           8
        .value_kind:     hidden_global_offset_y
      - .offset:         144
        .size:           8
        .value_kind:     hidden_global_offset_z
      - .offset:         152
        .size:           2
        .value_kind:     hidden_grid_dims
    .group_segment_fixed_size: 0
    .kernarg_segment_align: 8
    .kernarg_segment_size: 344
    .language:       OpenCL C
    .language_version:
      - 2
      - 0
    .max_flat_workgroup_size: 512
    .name:           _ZL20rocblas_tpmvc_kernelILi512EPKPKfPKPfS4_EvbbiT0_llT1_lllT2_li
    .private_segment_fixed_size: 0
    .sgpr_count:     34
    .sgpr_spill_count: 0
    .symbol:         _ZL20rocblas_tpmvc_kernelILi512EPKPKfPKPfS4_EvbbiT0_llT1_lllT2_li.kd
    .uniform_work_group_size: 1
    .uses_dynamic_stack: false
    .vgpr_count:     28
    .vgpr_spill_count: 0
    .wavefront_size: 32
  - .args:
      - .offset:         0
        .size:           1
        .value_kind:     by_value
      - .offset:         1
        .size:           1
        .value_kind:     by_value
      - .offset:         4
        .size:           4
        .value_kind:     by_value
      - .address_space:  global
        .offset:         8
        .size:           8
        .value_kind:     global_buffer
      - .offset:         16
        .size:           8
        .value_kind:     by_value
      - .offset:         24
        .size:           8
        .value_kind:     by_value
      - .address_space:  global
        .offset:         32
        .size:           8
        .value_kind:     global_buffer
      - .offset:         40
        .size:           8
        .value_kind:     by_value
      - .offset:         48
        .size:           8
        .value_kind:     by_value
      - .offset:         56
        .size:           8
        .value_kind:     by_value
      - .address_space:  global
        .offset:         64
        .size:           8
        .value_kind:     global_buffer
      - .offset:         72
        .size:           8
        .value_kind:     by_value
      - .offset:         80
        .size:           4
        .value_kind:     by_value
      - .offset:         88
        .size:           4
        .value_kind:     hidden_block_count_x
      - .offset:         92
        .size:           4
        .value_kind:     hidden_block_count_y
      - .offset:         96
        .size:           4
        .value_kind:     hidden_block_count_z
      - .offset:         100
        .size:           2
        .value_kind:     hidden_group_size_x
      - .offset:         102
        .size:           2
        .value_kind:     hidden_group_size_y
      - .offset:         104
        .size:           2
        .value_kind:     hidden_group_size_z
      - .offset:         106
        .size:           2
        .value_kind:     hidden_remainder_x
      - .offset:         108
        .size:           2
        .value_kind:     hidden_remainder_y
      - .offset:         110
        .size:           2
        .value_kind:     hidden_remainder_z
      - .offset:         128
        .size:           8
        .value_kind:     hidden_global_offset_x
      - .offset:         136
        .size:           8
        .value_kind:     hidden_global_offset_y
      - .offset:         144
        .size:           8
        .value_kind:     hidden_global_offset_z
      - .offset:         152
        .size:           2
        .value_kind:     hidden_grid_dims
    .group_segment_fixed_size: 0
    .kernarg_segment_align: 8
    .kernarg_segment_size: 344
    .language:       OpenCL C
    .language_version:
      - 2
      - 0
    .max_flat_workgroup_size: 512
    .name:           _ZL20rocblas_tpmvn_kernelILi512EPKPKdPKPdS4_EvbbiT0_llT1_lllT2_li
    .private_segment_fixed_size: 0
    .sgpr_count:     44
    .sgpr_spill_count: 0
    .symbol:         _ZL20rocblas_tpmvn_kernelILi512EPKPKdPKPdS4_EvbbiT0_llT1_lllT2_li.kd
    .uniform_work_group_size: 1
    .uses_dynamic_stack: false
    .vgpr_count:     36
    .vgpr_spill_count: 0
    .wavefront_size: 32
  - .args:
      - .offset:         0
        .size:           1
        .value_kind:     by_value
      - .offset:         1
        .size:           1
        .value_kind:     by_value
      - .offset:         4
        .size:           4
        .value_kind:     by_value
      - .address_space:  global
        .offset:         8
        .size:           8
        .value_kind:     global_buffer
      - .offset:         16
        .size:           8
        .value_kind:     by_value
      - .offset:         24
        .size:           8
        .value_kind:     by_value
      - .address_space:  global
        .offset:         32
        .size:           8
        .value_kind:     global_buffer
      - .offset:         40
        .size:           8
        .value_kind:     by_value
      - .offset:         48
        .size:           8
        .value_kind:     by_value
      - .offset:         56
        .size:           8
        .value_kind:     by_value
      - .address_space:  global
        .offset:         64
        .size:           8
        .value_kind:     global_buffer
      - .offset:         72
        .size:           8
        .value_kind:     by_value
      - .offset:         80
        .size:           4
        .value_kind:     by_value
      - .offset:         88
        .size:           4
        .value_kind:     hidden_block_count_x
      - .offset:         92
        .size:           4
        .value_kind:     hidden_block_count_y
      - .offset:         96
        .size:           4
        .value_kind:     hidden_block_count_z
      - .offset:         100
        .size:           2
        .value_kind:     hidden_group_size_x
      - .offset:         102
        .size:           2
        .value_kind:     hidden_group_size_y
      - .offset:         104
        .size:           2
        .value_kind:     hidden_group_size_z
      - .offset:         106
        .size:           2
        .value_kind:     hidden_remainder_x
      - .offset:         108
        .size:           2
        .value_kind:     hidden_remainder_y
      - .offset:         110
        .size:           2
        .value_kind:     hidden_remainder_z
      - .offset:         128
        .size:           8
        .value_kind:     hidden_global_offset_x
      - .offset:         136
        .size:           8
        .value_kind:     hidden_global_offset_y
      - .offset:         144
        .size:           8
        .value_kind:     hidden_global_offset_z
      - .offset:         152
        .size:           2
        .value_kind:     hidden_grid_dims
    .group_segment_fixed_size: 0
    .kernarg_segment_align: 8
    .kernarg_segment_size: 344
    .language:       OpenCL C
    .language_version:
      - 2
      - 0
    .max_flat_workgroup_size: 512
    .name:           _ZL20rocblas_tpmvt_kernelILi512EPKPKdPKPdS4_EvbbiT0_llT1_lllT2_li
    .private_segment_fixed_size: 0
    .sgpr_count:     34
    .sgpr_spill_count: 0
    .symbol:         _ZL20rocblas_tpmvt_kernelILi512EPKPKdPKPdS4_EvbbiT0_llT1_lllT2_li.kd
    .uniform_work_group_size: 1
    .uses_dynamic_stack: false
    .vgpr_count:     32
    .vgpr_spill_count: 0
    .wavefront_size: 32
  - .args:
      - .offset:         0
        .size:           1
        .value_kind:     by_value
      - .offset:         1
        .size:           1
        .value_kind:     by_value
      - .offset:         4
        .size:           4
        .value_kind:     by_value
      - .address_space:  global
        .offset:         8
        .size:           8
        .value_kind:     global_buffer
      - .offset:         16
        .size:           8
        .value_kind:     by_value
      - .offset:         24
        .size:           8
        .value_kind:     by_value
      - .address_space:  global
        .offset:         32
        .size:           8
        .value_kind:     global_buffer
      - .offset:         40
        .size:           8
        .value_kind:     by_value
      - .offset:         48
        .size:           8
        .value_kind:     by_value
      - .offset:         56
        .size:           8
        .value_kind:     by_value
      - .address_space:  global
        .offset:         64
        .size:           8
        .value_kind:     global_buffer
      - .offset:         72
        .size:           8
        .value_kind:     by_value
      - .offset:         80
        .size:           4
        .value_kind:     by_value
      - .offset:         88
        .size:           4
        .value_kind:     hidden_block_count_x
      - .offset:         92
        .size:           4
        .value_kind:     hidden_block_count_y
      - .offset:         96
        .size:           4
        .value_kind:     hidden_block_count_z
      - .offset:         100
        .size:           2
        .value_kind:     hidden_group_size_x
      - .offset:         102
        .size:           2
        .value_kind:     hidden_group_size_y
      - .offset:         104
        .size:           2
        .value_kind:     hidden_group_size_z
      - .offset:         106
        .size:           2
        .value_kind:     hidden_remainder_x
      - .offset:         108
        .size:           2
        .value_kind:     hidden_remainder_y
      - .offset:         110
        .size:           2
        .value_kind:     hidden_remainder_z
      - .offset:         128
        .size:           8
        .value_kind:     hidden_global_offset_x
      - .offset:         136
        .size:           8
        .value_kind:     hidden_global_offset_y
      - .offset:         144
        .size:           8
        .value_kind:     hidden_global_offset_z
      - .offset:         152
        .size:           2
        .value_kind:     hidden_grid_dims
    .group_segment_fixed_size: 0
    .kernarg_segment_align: 8
    .kernarg_segment_size: 344
    .language:       OpenCL C
    .language_version:
      - 2
      - 0
    .max_flat_workgroup_size: 512
    .name:           _ZL20rocblas_tpmvc_kernelILi512EPKPKdPKPdS4_EvbbiT0_llT1_lllT2_li
    .private_segment_fixed_size: 0
    .sgpr_count:     34
    .sgpr_spill_count: 0
    .symbol:         _ZL20rocblas_tpmvc_kernelILi512EPKPKdPKPdS4_EvbbiT0_llT1_lllT2_li.kd
    .uniform_work_group_size: 1
    .uses_dynamic_stack: false
    .vgpr_count:     32
    .vgpr_spill_count: 0
    .wavefront_size: 32
  - .args:
      - .offset:         0
        .size:           1
        .value_kind:     by_value
      - .offset:         1
        .size:           1
        .value_kind:     by_value
      - .offset:         4
        .size:           4
        .value_kind:     by_value
      - .address_space:  global
        .offset:         8
        .size:           8
        .value_kind:     global_buffer
      - .offset:         16
        .size:           8
        .value_kind:     by_value
      - .offset:         24
        .size:           8
        .value_kind:     by_value
      - .address_space:  global
        .offset:         32
        .size:           8
        .value_kind:     global_buffer
      - .offset:         40
        .size:           8
        .value_kind:     by_value
      - .offset:         48
        .size:           8
        .value_kind:     by_value
      - .offset:         56
        .size:           8
        .value_kind:     by_value
      - .address_space:  global
        .offset:         64
        .size:           8
        .value_kind:     global_buffer
      - .offset:         72
        .size:           8
        .value_kind:     by_value
      - .offset:         80
        .size:           4
        .value_kind:     by_value
      - .offset:         88
        .size:           4
        .value_kind:     hidden_block_count_x
      - .offset:         92
        .size:           4
        .value_kind:     hidden_block_count_y
      - .offset:         96
        .size:           4
        .value_kind:     hidden_block_count_z
      - .offset:         100
        .size:           2
        .value_kind:     hidden_group_size_x
      - .offset:         102
        .size:           2
        .value_kind:     hidden_group_size_y
      - .offset:         104
        .size:           2
        .value_kind:     hidden_group_size_z
      - .offset:         106
        .size:           2
        .value_kind:     hidden_remainder_x
      - .offset:         108
        .size:           2
        .value_kind:     hidden_remainder_y
      - .offset:         110
        .size:           2
        .value_kind:     hidden_remainder_z
      - .offset:         128
        .size:           8
        .value_kind:     hidden_global_offset_x
      - .offset:         136
        .size:           8
        .value_kind:     hidden_global_offset_y
      - .offset:         144
        .size:           8
        .value_kind:     hidden_global_offset_z
      - .offset:         152
        .size:           2
        .value_kind:     hidden_grid_dims
    .group_segment_fixed_size: 0
    .kernarg_segment_align: 8
    .kernarg_segment_size: 344
    .language:       OpenCL C
    .language_version:
      - 2
      - 0
    .max_flat_workgroup_size: 512
    .name:           _ZL20rocblas_tpmvn_kernelILi512EPKPK19rocblas_complex_numIfEPKPS1_S6_EvbbiT0_llT1_lllT2_li
    .private_segment_fixed_size: 0
    .sgpr_count:     38
    .sgpr_spill_count: 0
    .symbol:         _ZL20rocblas_tpmvn_kernelILi512EPKPK19rocblas_complex_numIfEPKPS1_S6_EvbbiT0_llT1_lllT2_li.kd
    .uniform_work_group_size: 1
    .uses_dynamic_stack: false
    .vgpr_count:     38
    .vgpr_spill_count: 0
    .wavefront_size: 32
  - .args:
      - .offset:         0
        .size:           1
        .value_kind:     by_value
      - .offset:         1
        .size:           1
        .value_kind:     by_value
      - .offset:         4
        .size:           4
        .value_kind:     by_value
      - .address_space:  global
        .offset:         8
        .size:           8
        .value_kind:     global_buffer
      - .offset:         16
        .size:           8
        .value_kind:     by_value
      - .offset:         24
        .size:           8
        .value_kind:     by_value
      - .address_space:  global
        .offset:         32
        .size:           8
        .value_kind:     global_buffer
      - .offset:         40
        .size:           8
        .value_kind:     by_value
      - .offset:         48
        .size:           8
        .value_kind:     by_value
      - .offset:         56
        .size:           8
        .value_kind:     by_value
      - .address_space:  global
        .offset:         64
        .size:           8
        .value_kind:     global_buffer
      - .offset:         72
        .size:           8
        .value_kind:     by_value
      - .offset:         80
        .size:           4
        .value_kind:     by_value
      - .offset:         88
        .size:           4
        .value_kind:     hidden_block_count_x
      - .offset:         92
        .size:           4
        .value_kind:     hidden_block_count_y
      - .offset:         96
        .size:           4
        .value_kind:     hidden_block_count_z
      - .offset:         100
        .size:           2
        .value_kind:     hidden_group_size_x
      - .offset:         102
        .size:           2
        .value_kind:     hidden_group_size_y
      - .offset:         104
        .size:           2
        .value_kind:     hidden_group_size_z
      - .offset:         106
        .size:           2
        .value_kind:     hidden_remainder_x
      - .offset:         108
        .size:           2
        .value_kind:     hidden_remainder_y
      - .offset:         110
        .size:           2
        .value_kind:     hidden_remainder_z
      - .offset:         128
        .size:           8
        .value_kind:     hidden_global_offset_x
      - .offset:         136
        .size:           8
        .value_kind:     hidden_global_offset_y
      - .offset:         144
        .size:           8
        .value_kind:     hidden_global_offset_z
      - .offset:         152
        .size:           2
        .value_kind:     hidden_grid_dims
    .group_segment_fixed_size: 0
    .kernarg_segment_align: 8
    .kernarg_segment_size: 344
    .language:       OpenCL C
    .language_version:
      - 2
      - 0
    .max_flat_workgroup_size: 512
    .name:           _ZL20rocblas_tpmvt_kernelILi512EPKPK19rocblas_complex_numIfEPKPS1_S6_EvbbiT0_llT1_lllT2_li
    .private_segment_fixed_size: 0
    .sgpr_count:     28
    .sgpr_spill_count: 0
    .symbol:         _ZL20rocblas_tpmvt_kernelILi512EPKPK19rocblas_complex_numIfEPKPS1_S6_EvbbiT0_llT1_lllT2_li.kd
    .uniform_work_group_size: 1
    .uses_dynamic_stack: false
    .vgpr_count:     40
    .vgpr_spill_count: 0
    .wavefront_size: 32
  - .args:
      - .offset:         0
        .size:           1
        .value_kind:     by_value
      - .offset:         1
        .size:           1
        .value_kind:     by_value
      - .offset:         4
        .size:           4
        .value_kind:     by_value
      - .address_space:  global
        .offset:         8
        .size:           8
        .value_kind:     global_buffer
      - .offset:         16
        .size:           8
        .value_kind:     by_value
      - .offset:         24
        .size:           8
        .value_kind:     by_value
      - .address_space:  global
        .offset:         32
        .size:           8
        .value_kind:     global_buffer
      - .offset:         40
        .size:           8
        .value_kind:     by_value
      - .offset:         48
        .size:           8
        .value_kind:     by_value
      - .offset:         56
        .size:           8
        .value_kind:     by_value
      - .address_space:  global
        .offset:         64
        .size:           8
        .value_kind:     global_buffer
      - .offset:         72
        .size:           8
        .value_kind:     by_value
      - .offset:         80
        .size:           4
        .value_kind:     by_value
      - .offset:         88
        .size:           4
        .value_kind:     hidden_block_count_x
      - .offset:         92
        .size:           4
        .value_kind:     hidden_block_count_y
      - .offset:         96
        .size:           4
        .value_kind:     hidden_block_count_z
      - .offset:         100
        .size:           2
        .value_kind:     hidden_group_size_x
      - .offset:         102
        .size:           2
        .value_kind:     hidden_group_size_y
      - .offset:         104
        .size:           2
        .value_kind:     hidden_group_size_z
      - .offset:         106
        .size:           2
        .value_kind:     hidden_remainder_x
      - .offset:         108
        .size:           2
        .value_kind:     hidden_remainder_y
      - .offset:         110
        .size:           2
        .value_kind:     hidden_remainder_z
      - .offset:         128
        .size:           8
        .value_kind:     hidden_global_offset_x
      - .offset:         136
        .size:           8
        .value_kind:     hidden_global_offset_y
      - .offset:         144
        .size:           8
        .value_kind:     hidden_global_offset_z
      - .offset:         152
        .size:           2
        .value_kind:     hidden_grid_dims
    .group_segment_fixed_size: 0
    .kernarg_segment_align: 8
    .kernarg_segment_size: 344
    .language:       OpenCL C
    .language_version:
      - 2
      - 0
    .max_flat_workgroup_size: 512
    .name:           _ZL20rocblas_tpmvc_kernelILi512EPKPK19rocblas_complex_numIfEPKPS1_S6_EvbbiT0_llT1_lllT2_li
    .private_segment_fixed_size: 0
    .sgpr_count:     28
    .sgpr_spill_count: 0
    .symbol:         _ZL20rocblas_tpmvc_kernelILi512EPKPK19rocblas_complex_numIfEPKPS1_S6_EvbbiT0_llT1_lllT2_li.kd
    .uniform_work_group_size: 1
    .uses_dynamic_stack: false
    .vgpr_count:     42
    .vgpr_spill_count: 0
    .wavefront_size: 32
  - .args:
      - .offset:         0
        .size:           1
        .value_kind:     by_value
      - .offset:         1
        .size:           1
        .value_kind:     by_value
      - .offset:         4
        .size:           4
        .value_kind:     by_value
      - .address_space:  global
        .offset:         8
        .size:           8
        .value_kind:     global_buffer
      - .offset:         16
        .size:           8
        .value_kind:     by_value
      - .offset:         24
        .size:           8
        .value_kind:     by_value
      - .address_space:  global
        .offset:         32
        .size:           8
        .value_kind:     global_buffer
      - .offset:         40
        .size:           8
        .value_kind:     by_value
      - .offset:         48
        .size:           8
        .value_kind:     by_value
      - .offset:         56
        .size:           8
        .value_kind:     by_value
      - .address_space:  global
        .offset:         64
        .size:           8
        .value_kind:     global_buffer
      - .offset:         72
        .size:           8
        .value_kind:     by_value
      - .offset:         80
        .size:           4
        .value_kind:     by_value
      - .offset:         88
        .size:           4
        .value_kind:     hidden_block_count_x
      - .offset:         92
        .size:           4
        .value_kind:     hidden_block_count_y
      - .offset:         96
        .size:           4
        .value_kind:     hidden_block_count_z
      - .offset:         100
        .size:           2
        .value_kind:     hidden_group_size_x
      - .offset:         102
        .size:           2
        .value_kind:     hidden_group_size_y
      - .offset:         104
        .size:           2
        .value_kind:     hidden_group_size_z
      - .offset:         106
        .size:           2
        .value_kind:     hidden_remainder_x
      - .offset:         108
        .size:           2
        .value_kind:     hidden_remainder_y
      - .offset:         110
        .size:           2
        .value_kind:     hidden_remainder_z
      - .offset:         128
        .size:           8
        .value_kind:     hidden_global_offset_x
      - .offset:         136
        .size:           8
        .value_kind:     hidden_global_offset_y
      - .offset:         144
        .size:           8
        .value_kind:     hidden_global_offset_z
      - .offset:         152
        .size:           2
        .value_kind:     hidden_grid_dims
    .group_segment_fixed_size: 0
    .kernarg_segment_align: 8
    .kernarg_segment_size: 344
    .language:       OpenCL C
    .language_version:
      - 2
      - 0
    .max_flat_workgroup_size: 512
    .name:           _ZL20rocblas_tpmvn_kernelILi512EPKPK19rocblas_complex_numIdEPKPS1_S6_EvbbiT0_llT1_lllT2_li
    .private_segment_fixed_size: 0
    .sgpr_count:     46
    .sgpr_spill_count: 0
    .symbol:         _ZL20rocblas_tpmvn_kernelILi512EPKPK19rocblas_complex_numIdEPKPS1_S6_EvbbiT0_llT1_lllT2_li.kd
    .uniform_work_group_size: 1
    .uses_dynamic_stack: false
    .vgpr_count:     42
    .vgpr_spill_count: 0
    .wavefront_size: 32
  - .args:
      - .offset:         0
        .size:           1
        .value_kind:     by_value
      - .offset:         1
        .size:           1
        .value_kind:     by_value
      - .offset:         4
        .size:           4
        .value_kind:     by_value
      - .address_space:  global
        .offset:         8
        .size:           8
        .value_kind:     global_buffer
      - .offset:         16
        .size:           8
        .value_kind:     by_value
      - .offset:         24
        .size:           8
        .value_kind:     by_value
      - .address_space:  global
        .offset:         32
        .size:           8
        .value_kind:     global_buffer
      - .offset:         40
        .size:           8
        .value_kind:     by_value
      - .offset:         48
        .size:           8
        .value_kind:     by_value
      - .offset:         56
        .size:           8
        .value_kind:     by_value
      - .address_space:  global
        .offset:         64
        .size:           8
        .value_kind:     global_buffer
      - .offset:         72
        .size:           8
        .value_kind:     by_value
      - .offset:         80
        .size:           4
        .value_kind:     by_value
      - .offset:         88
        .size:           4
        .value_kind:     hidden_block_count_x
      - .offset:         92
        .size:           4
        .value_kind:     hidden_block_count_y
      - .offset:         96
        .size:           4
        .value_kind:     hidden_block_count_z
      - .offset:         100
        .size:           2
        .value_kind:     hidden_group_size_x
      - .offset:         102
        .size:           2
        .value_kind:     hidden_group_size_y
      - .offset:         104
        .size:           2
        .value_kind:     hidden_group_size_z
      - .offset:         106
        .size:           2
        .value_kind:     hidden_remainder_x
      - .offset:         108
        .size:           2
        .value_kind:     hidden_remainder_y
      - .offset:         110
        .size:           2
        .value_kind:     hidden_remainder_z
      - .offset:         128
        .size:           8
        .value_kind:     hidden_global_offset_x
      - .offset:         136
        .size:           8
        .value_kind:     hidden_global_offset_y
      - .offset:         144
        .size:           8
        .value_kind:     hidden_global_offset_z
      - .offset:         152
        .size:           2
        .value_kind:     hidden_grid_dims
    .group_segment_fixed_size: 0
    .kernarg_segment_align: 8
    .kernarg_segment_size: 344
    .language:       OpenCL C
    .language_version:
      - 2
      - 0
    .max_flat_workgroup_size: 512
    .name:           _ZL20rocblas_tpmvt_kernelILi512EPKPK19rocblas_complex_numIdEPKPS1_S6_EvbbiT0_llT1_lllT2_li
    .private_segment_fixed_size: 0
    .sgpr_count:     34
    .sgpr_spill_count: 0
    .symbol:         _ZL20rocblas_tpmvt_kernelILi512EPKPK19rocblas_complex_numIdEPKPS1_S6_EvbbiT0_llT1_lllT2_li.kd
    .uniform_work_group_size: 1
    .uses_dynamic_stack: false
    .vgpr_count:     42
    .vgpr_spill_count: 0
    .wavefront_size: 32
  - .args:
      - .offset:         0
        .size:           1
        .value_kind:     by_value
      - .offset:         1
        .size:           1
        .value_kind:     by_value
      - .offset:         4
        .size:           4
        .value_kind:     by_value
      - .address_space:  global
        .offset:         8
        .size:           8
        .value_kind:     global_buffer
      - .offset:         16
        .size:           8
        .value_kind:     by_value
      - .offset:         24
        .size:           8
        .value_kind:     by_value
      - .address_space:  global
        .offset:         32
        .size:           8
        .value_kind:     global_buffer
      - .offset:         40
        .size:           8
        .value_kind:     by_value
      - .offset:         48
        .size:           8
        .value_kind:     by_value
      - .offset:         56
        .size:           8
        .value_kind:     by_value
      - .address_space:  global
        .offset:         64
        .size:           8
        .value_kind:     global_buffer
      - .offset:         72
        .size:           8
        .value_kind:     by_value
      - .offset:         80
        .size:           4
        .value_kind:     by_value
      - .offset:         88
        .size:           4
        .value_kind:     hidden_block_count_x
      - .offset:         92
        .size:           4
        .value_kind:     hidden_block_count_y
      - .offset:         96
        .size:           4
        .value_kind:     hidden_block_count_z
      - .offset:         100
        .size:           2
        .value_kind:     hidden_group_size_x
      - .offset:         102
        .size:           2
        .value_kind:     hidden_group_size_y
      - .offset:         104
        .size:           2
        .value_kind:     hidden_group_size_z
      - .offset:         106
        .size:           2
        .value_kind:     hidden_remainder_x
      - .offset:         108
        .size:           2
        .value_kind:     hidden_remainder_y
      - .offset:         110
        .size:           2
        .value_kind:     hidden_remainder_z
      - .offset:         128
        .size:           8
        .value_kind:     hidden_global_offset_x
      - .offset:         136
        .size:           8
        .value_kind:     hidden_global_offset_y
      - .offset:         144
        .size:           8
        .value_kind:     hidden_global_offset_z
      - .offset:         152
        .size:           2
        .value_kind:     hidden_grid_dims
    .group_segment_fixed_size: 0
    .kernarg_segment_align: 8
    .kernarg_segment_size: 344
    .language:       OpenCL C
    .language_version:
      - 2
      - 0
    .max_flat_workgroup_size: 512
    .name:           _ZL20rocblas_tpmvc_kernelILi512EPKPK19rocblas_complex_numIdEPKPS1_S6_EvbbiT0_llT1_lllT2_li
    .private_segment_fixed_size: 0
    .sgpr_count:     34
    .sgpr_spill_count: 0
    .symbol:         _ZL20rocblas_tpmvc_kernelILi512EPKPK19rocblas_complex_numIdEPKPS1_S6_EvbbiT0_llT1_lllT2_li.kd
    .uniform_work_group_size: 1
    .uses_dynamic_stack: false
    .vgpr_count:     42
    .vgpr_spill_count: 0
    .wavefront_size: 32
amdhsa.target:   amdgcn-amd-amdhsa--gfx1250
amdhsa.version:
  - 1
  - 2
...

	.end_amdgpu_metadata
